;; amdgpu-corpus repo=pytorch/pytorch kind=compiled arch=gfx1030 opt=O3
	.amdgcn_target "amdgcn-amd-amdhsa--gfx1030"
	.amdhsa_code_object_version 6
	.section	.text._ZN2at6native19tril_indices_kernelIiEEvPT_lllll,"axG",@progbits,_ZN2at6native19tril_indices_kernelIiEEvPT_lllll,comdat
	.protected	_ZN2at6native19tril_indices_kernelIiEEvPT_lllll ; -- Begin function _ZN2at6native19tril_indices_kernelIiEEvPT_lllll
	.globl	_ZN2at6native19tril_indices_kernelIiEEvPT_lllll
	.p2align	8
	.type	_ZN2at6native19tril_indices_kernelIiEEvPT_lllll,@function
_ZN2at6native19tril_indices_kernelIiEEvPT_lllll: ; @_ZN2at6native19tril_indices_kernelIiEEvPT_lllll
; %bb.0:
	s_clause 0x1
	s_load_dword s7, s[4:5], 0x3c
	s_load_dwordx4 s[0:3], s[4:5], 0x20
	v_mov_b32_e32 v1, 0
	s_waitcnt lgkmcnt(0)
	s_and_b32 s7, s7, 0xffff
	v_mad_u64_u32 v[0:1], null, s7, s6, v[0:1]
	s_mov_b32 s6, exec_lo
	v_cmpx_gt_i64_e64 s[2:3], v[0:1]
	s_cbranch_execz .LBB0_16
; %bb.1:
	s_load_dwordx8 s[4:11], s[4:5], 0x0
	s_waitcnt lgkmcnt(0)
	s_mov_b32 s7, exec_lo
                                        ; implicit-def: $vgpr4_vgpr5
                                        ; implicit-def: $vgpr2_vgpr3
	v_cmpx_le_i64_e64 s[0:1], v[0:1]
	s_xor_b32 s7, exec_lo, s7
	s_cbranch_execz .LBB0_7
; %bb.2:
	v_sub_co_u32 v4, vcc_lo, v0, s0
	v_subrev_co_ci_u32_e64 v5, null, s1, v1, vcc_lo
	v_mov_b32_e32 v2, 0
	v_or_b32_e32 v3, s11, v5
	v_cmp_ne_u64_e32 vcc_lo, 0, v[2:3]
                                        ; implicit-def: $vgpr2_vgpr3
	s_and_saveexec_b32 s0, vcc_lo
	s_xor_b32 s1, exec_lo, s0
	s_cbranch_execz .LBB0_4
; %bb.3:
	s_ashr_i32 s12, s11, 31
	v_ashrrev_i32_e32 v10, 31, v5
	s_add_u32 s14, s10, s12
	s_mov_b32 s13, s12
	s_addc_u32 s15, s11, s12
	s_xor_b64 s[14:15], s[14:15], s[12:13]
	v_add_co_u32 v6, vcc_lo, v4, v10
	v_cvt_f32_u32_e32 v2, s14
	v_cvt_f32_u32_e32 v3, s15
	s_sub_u32 s16, 0, s14
	s_subb_u32 s17, 0, s15
	v_add_co_ci_u32_e64 v7, null, v5, v10, vcc_lo
	v_fmamk_f32 v2, v3, 0x4f800000, v2
	v_xor_b32_e32 v11, v6, v10
	v_xor_b32_e32 v12, v7, v10
	v_rcp_f32_e32 v2, v2
	v_mul_f32_e32 v2, 0x5f7ffffc, v2
	v_mul_f32_e32 v3, 0x2f800000, v2
	v_trunc_f32_e32 v3, v3
	v_fmamk_f32 v2, v3, 0xcf800000, v2
	v_cvt_u32_f32_e32 v3, v3
	v_cvt_u32_f32_e32 v2, v2
	v_readfirstlane_b32 s0, v3
	v_readfirstlane_b32 s13, v2
	s_mul_i32 s18, s16, s0
	s_mul_hi_u32 s20, s16, s13
	s_mul_i32 s19, s17, s13
	s_add_i32 s18, s20, s18
	s_mul_i32 s21, s16, s13
	s_add_i32 s18, s18, s19
	s_mul_hi_u32 s20, s13, s21
	s_mul_i32 s23, s13, s18
	s_mul_hi_u32 s22, s0, s21
	s_mul_i32 s19, s0, s21
	s_mul_hi_u32 s21, s13, s18
	s_add_u32 s20, s20, s23
	s_addc_u32 s21, 0, s21
	s_mul_hi_u32 s24, s0, s18
	s_add_u32 s19, s20, s19
	s_mul_i32 s18, s0, s18
	s_addc_u32 s19, s21, s22
	s_addc_u32 s20, s24, 0
	s_add_u32 s18, s19, s18
	s_addc_u32 s19, 0, s20
	s_add_u32 s13, s13, s18
	s_cselect_b32 s18, -1, 0
	s_mul_hi_u32 s20, s16, s13
	s_cmp_lg_u32 s18, 0
	s_mul_i32 s18, s16, s13
	s_addc_u32 s0, s0, s19
	s_mul_i32 s17, s17, s13
	s_mul_i32 s16, s16, s0
	s_mul_hi_u32 s19, s13, s18
	s_add_i32 s16, s20, s16
	s_mul_hi_u32 s20, s0, s18
	s_add_i32 s16, s16, s17
	s_mul_i32 s17, s0, s18
	s_mul_i32 s22, s13, s16
	s_mul_hi_u32 s21, s13, s16
	s_add_u32 s19, s19, s22
	s_addc_u32 s21, 0, s21
	s_mul_hi_u32 s18, s0, s16
	s_add_u32 s17, s19, s17
	s_mul_i32 s16, s0, s16
	s_addc_u32 s17, s21, s20
	s_addc_u32 s18, s18, 0
	s_add_u32 s16, s17, s16
	s_addc_u32 s17, 0, s18
	s_add_u32 s13, s13, s16
	s_cselect_b32 s16, -1, 0
	v_mul_hi_u32 v13, v11, s13
	s_cmp_lg_u32 s16, 0
	v_mad_u64_u32 v[6:7], null, v12, s13, 0
	s_addc_u32 s0, s0, s17
	v_mad_u64_u32 v[2:3], null, v11, s0, 0
	v_mad_u64_u32 v[8:9], null, v12, s0, 0
	v_add_co_u32 v2, vcc_lo, v13, v2
	v_add_co_ci_u32_e64 v3, null, 0, v3, vcc_lo
	v_add_co_u32 v2, vcc_lo, v2, v6
	v_add_co_ci_u32_e32 v2, vcc_lo, v3, v7, vcc_lo
	v_add_co_ci_u32_e32 v3, vcc_lo, 0, v9, vcc_lo
	v_add_co_u32 v6, vcc_lo, v2, v8
	v_add_co_ci_u32_e64 v7, null, 0, v3, vcc_lo
	v_mul_lo_u32 v8, s15, v6
	v_mad_u64_u32 v[2:3], null, s14, v6, 0
	v_mul_lo_u32 v9, s14, v7
	v_sub_co_u32 v2, vcc_lo, v11, v2
	v_add3_u32 v3, v3, v9, v8
	v_add_co_u32 v9, s0, v6, 2
	v_add_co_ci_u32_e64 v11, null, 0, v7, s0
	v_sub_nc_u32_e32 v8, v12, v3
	v_sub_co_u32 v13, s0, v2, s14
	v_sub_co_ci_u32_e64 v3, null, v12, v3, vcc_lo
	v_subrev_co_ci_u32_e64 v8, null, s15, v8, vcc_lo
	v_cmp_le_u32_e32 vcc_lo, s14, v13
	v_subrev_co_ci_u32_e64 v8, null, 0, v8, s0
	v_cndmask_b32_e64 v12, 0, -1, vcc_lo
	v_cmp_le_u32_e32 vcc_lo, s15, v8
	v_cndmask_b32_e64 v13, 0, -1, vcc_lo
	v_cmp_le_u32_e32 vcc_lo, s14, v2
	;; [unrolled: 2-line block ×3, first 2 shown]
	v_cndmask_b32_e64 v14, 0, -1, vcc_lo
	v_cmp_eq_u32_e32 vcc_lo, s15, v8
	v_cndmask_b32_e32 v8, v13, v12, vcc_lo
	v_add_co_u32 v12, vcc_lo, v6, 1
	v_add_co_ci_u32_e64 v13, null, 0, v7, vcc_lo
	v_cmp_eq_u32_e32 vcc_lo, s15, v3
	v_cndmask_b32_e32 v2, v14, v2, vcc_lo
	v_cmp_ne_u32_e32 vcc_lo, 0, v8
	v_xor_b32_e32 v8, s12, v10
	v_cmp_ne_u32_e64 s0, 0, v2
	v_cndmask_b32_e32 v2, v12, v9, vcc_lo
	v_cndmask_b32_e32 v3, v13, v11, vcc_lo
	v_cndmask_b32_e64 v2, v6, v2, s0
	v_cndmask_b32_e64 v3, v7, v3, s0
	v_xor_b32_e32 v2, v2, v8
	v_xor_b32_e32 v3, v3, v8
	v_sub_co_u32 v2, vcc_lo, v2, v8
	v_sub_co_ci_u32_e64 v3, null, v3, v8, vcc_lo
.LBB0_4:
	s_andn2_saveexec_b32 s0, s1
	s_cbranch_execz .LBB0_6
; %bb.5:
	v_cvt_f32_u32_e32 v2, s10
	s_sub_i32 s1, 0, s10
	v_rcp_iflag_f32_e32 v2, v2
	v_mul_f32_e32 v2, 0x4f7ffffe, v2
	v_cvt_u32_f32_e32 v2, v2
	v_mul_lo_u32 v3, s1, v2
	v_mul_hi_u32 v3, v2, v3
	v_add_nc_u32_e32 v2, v2, v3
	v_mul_hi_u32 v2, v4, v2
	v_mul_lo_u32 v3, v2, s10
	v_add_nc_u32_e32 v6, 1, v2
	v_sub_nc_u32_e32 v3, v4, v3
	v_subrev_nc_u32_e32 v7, s10, v3
	v_cmp_le_u32_e32 vcc_lo, s10, v3
	v_cndmask_b32_e32 v3, v3, v7, vcc_lo
	v_cndmask_b32_e32 v2, v2, v6, vcc_lo
	v_cmp_le_u32_e32 vcc_lo, s10, v3
	v_add_nc_u32_e32 v6, 1, v2
	v_mov_b32_e32 v3, 0
	v_cndmask_b32_e32 v2, v2, v6, vcc_lo
.LBB0_6:
	s_or_b32 exec_lo, exec_lo, s0
	v_mul_lo_u32 v8, v3, s10
	v_mul_lo_u32 v9, v2, s11
	v_mad_u64_u32 v[6:7], null, v2, s10, 0
	s_sub_u32 s0, s10, s8
	s_subb_u32 s1, s11, s9
	s_add_u32 s0, s0, 1
	s_addc_u32 s1, s1, 0
	v_add_co_u32 v2, vcc_lo, s0, v2
	v_add3_u32 v7, v7, v9, v8
	v_add_co_ci_u32_e64 v3, null, s1, v3, vcc_lo
	v_sub_co_u32 v4, vcc_lo, v4, v6
	v_sub_co_ci_u32_e64 v3, null, v5, v7, vcc_lo
.LBB0_7:
	s_andn2_saveexec_b32 s1, s7
	s_cbranch_execz .LBB0_15
; %bb.8:
	v_lshlrev_b64 v[2:3], 3, v[0:1]
	s_lshl_b64 s[10:11], s[8:9], 1
	s_add_u32 s7, s10, -1
	s_addc_u32 s8, s11, -1
	s_mul_i32 s0, s7, s8
	v_mad_u64_u32 v[4:5], null, s7, s7, v[2:3]
	v_add3_u32 v5, s0, s0, v5
	v_cvt_f64_u32_e32 v[6:7], v4
	s_sub_u32 s0, 1, s10
	s_subb_u32 s9, 0, s11
	v_cvt_f64_i32_e32 v[2:3], v5
	v_cvt_f64_i32_e32 v[12:13], s9
	s_mov_b32 s9, exec_lo
	v_ldexp_f64 v[2:3], v[2:3], 32
	v_add_f64 v[2:3], v[2:3], v[6:7]
	v_cmp_gt_f64_e32 vcc_lo, 0x10000000, v[2:3]
	v_cndmask_b32_e64 v6, 0, 0x100, vcc_lo
	v_ldexp_f64 v[2:3], v[2:3], v6
	v_rsq_f64_e32 v[6:7], v[2:3]
	v_mul_f64 v[8:9], v[2:3], v[6:7]
	v_mul_f64 v[6:7], v[6:7], 0.5
	v_fma_f64 v[10:11], -v[6:7], v[8:9], 0.5
	v_fma_f64 v[8:9], v[8:9], v[10:11], v[8:9]
	v_fma_f64 v[6:7], v[6:7], v[10:11], v[6:7]
	v_fma_f64 v[10:11], -v[8:9], v[8:9], v[2:3]
	v_fma_f64 v[8:9], v[10:11], v[6:7], v[8:9]
	v_fma_f64 v[10:11], -v[8:9], v[8:9], v[2:3]
	v_fma_f64 v[6:7], v[10:11], v[6:7], v[8:9]
	v_cvt_f64_u32_e32 v[8:9], s0
	v_ldexp_f64 v[10:11], v[12:13], 32
	v_cndmask_b32_e64 v12, 0, 0xffffff80, vcc_lo
	v_cmp_class_f64_e64 vcc_lo, v[2:3], 0x260
	v_ldexp_f64 v[6:7], v[6:7], v12
	v_add_f64 v[8:9], v[10:11], v[8:9]
	v_cndmask_b32_e32 v7, v7, v3, vcc_lo
	v_cndmask_b32_e32 v6, v6, v2, vcc_lo
	v_add_f64 v[2:3], v[6:7], v[8:9]
	v_mul_f64 v[8:9], v[6:7], v[6:7]
	v_mul_f64 v[2:3], v[2:3], 0.5
	v_trunc_f64_e32 v[8:9], v[8:9]
	v_floor_f64_e32 v[2:3], v[2:3]
	v_ldexp_f64 v[10:11], v[8:9], 0xffffffe0
	v_ldexp_f64 v[12:13], v[2:3], 0xffffffe0
	v_floor_f64_e32 v[10:11], v[10:11]
	v_floor_f64_e32 v[12:13], v[12:13]
	v_fma_f64 v[8:9], 0xc1f00000, v[10:11], v[8:9]
	v_cvt_i32_f64_e32 v10, v[10:11]
	v_fma_f64 v[2:3], 0xc1f00000, v[12:13], v[2:3]
	v_cvt_u32_f64_e32 v9, v[8:9]
	v_cvt_u32_f64_e32 v2, v[2:3]
	v_cvt_i32_f64_e32 v3, v[12:13]
	v_cmpx_ne_u64_e64 v[4:5], v[9:10]
	s_cbranch_execz .LBB0_14
; %bb.9:
	v_floor_f64_e32 v[6:7], v[6:7]
	v_ldexp_f64 v[8:9], v[6:7], 0xffffffe0
	v_floor_f64_e32 v[8:9], v[8:9]
	v_fma_f64 v[6:7], 0xc1f00000, v[8:9], v[6:7]
	v_cvt_i32_f64_e32 v8, v[8:9]
	v_cvt_u32_f64_e32 v6, v[6:7]
	v_mul_lo_u32 v8, v6, v8
	v_mad_u64_u32 v[6:7], null, v6, v6, 0
	v_add3_u32 v7, v7, v8, v8
	v_sub_co_u32 v6, vcc_lo, v4, v6
	v_sub_co_ci_u32_e64 v4, null, v5, v7, vcc_lo
	v_cvt_f64_u32_e32 v[6:7], v6
	v_cvt_f64_i32_e32 v[4:5], v4
	v_ldexp_f64 v[4:5], v[4:5], 32
	v_add_f64 v[4:5], v[4:5], v[6:7]
	v_cmp_gt_f64_e64 s0, 0x10000000, |v[4:5]|
	v_cndmask_b32_e64 v6, 0, 0x100, s0
	v_ldexp_f64 v[4:5], |v[4:5]|, v6
	v_rsq_f64_e32 v[6:7], v[4:5]
	v_cmp_class_f64_e64 vcc_lo, v[4:5], 0x260
	v_mul_f64 v[8:9], v[4:5], v[6:7]
	v_mul_f64 v[6:7], v[6:7], 0.5
	v_fma_f64 v[10:11], -v[6:7], v[8:9], 0.5
	v_fma_f64 v[8:9], v[8:9], v[10:11], v[8:9]
	v_fma_f64 v[6:7], v[6:7], v[10:11], v[6:7]
	v_fma_f64 v[10:11], -v[8:9], v[8:9], v[4:5]
	v_fma_f64 v[8:9], v[10:11], v[6:7], v[8:9]
	v_fma_f64 v[10:11], -v[8:9], v[8:9], v[4:5]
	v_fma_f64 v[6:7], v[10:11], v[6:7], v[8:9]
	v_cndmask_b32_e64 v8, 0, 0xffffff80, s0
	v_ldexp_f64 v[6:7], v[6:7], v8
	v_cndmask_b32_e32 v5, v7, v5, vcc_lo
	v_cndmask_b32_e32 v4, v6, v4, vcc_lo
	v_ceil_f64_e32 v[4:5], v[4:5]
	v_ldexp_f64 v[6:7], v[4:5], 0xffffffe0
	v_floor_f64_e32 v[6:7], v[6:7]
	v_fma_f64 v[4:5], 0xc1f00000, v[6:7], v[4:5]
	v_cvt_u32_f64_e32 v4, v[4:5]
	v_cvt_i32_f64_e32 v5, v[6:7]
	v_sub_co_u32 v6, vcc_lo, v2, v4
	v_sub_co_ci_u32_e64 v7, null, v3, v5, vcc_lo
	v_cmp_gt_i64_e32 vcc_lo, v[2:3], v[4:5]
	v_add_co_u32 v4, s0, v2, v4
	v_add_co_ci_u32_e64 v5, null, v3, v5, s0
	s_mov_b32 s0, exec_lo
	v_cndmask_b32_e32 v2, 0, v6, vcc_lo
	v_cndmask_b32_e32 v3, 0, v7, vcc_lo
	v_add_co_u32 v4, vcc_lo, v4, 1
	v_add_co_ci_u32_e64 v5, null, 0, v5, vcc_lo
	v_add_co_u32 v6, vcc_lo, v2, 1
	v_add_co_ci_u32_e64 v7, null, 0, v3, vcc_lo
	v_cmpx_lt_i64_e64 v[6:7], v[4:5]
	s_cbranch_execz .LBB0_13
; %bb.10:
	v_lshlrev_b64 v[6:7], 1, v[0:1]
	s_mov_b32 s10, 0
	.p2align	6
.LBB0_11:                               ; =>This Inner Loop Header: Depth=1
	v_add_co_u32 v8, vcc_lo, v2, v4
	v_add_co_ci_u32_e64 v9, null, v3, v5, vcc_lo
	v_ashrrev_i64 v[8:9], 1, v[8:9]
	v_add_co_u32 v10, vcc_lo, v8, s7
	v_add_co_ci_u32_e64 v11, null, s8, v9, vcc_lo
	v_mul_lo_u32 v13, v10, v9
	v_mul_lo_u32 v12, v11, v8
	v_mad_u64_u32 v[10:11], null, v10, v8, 0
	v_add3_u32 v11, v11, v13, v12
	v_cmp_gt_i64_e32 vcc_lo, v[10:11], v[6:7]
	v_cndmask_b32_e32 v2, v8, v2, vcc_lo
	v_cndmask_b32_e32 v3, v9, v3, vcc_lo
	;; [unrolled: 1-line block ×4, first 2 shown]
	v_add_co_u32 v8, vcc_lo, v2, 1
	v_add_co_ci_u32_e64 v9, null, 0, v3, vcc_lo
	v_cmp_ge_i64_e32 vcc_lo, v[8:9], v[4:5]
	s_or_b32 s10, vcc_lo, s10
	s_andn2_b32 exec_lo, exec_lo, s10
	s_cbranch_execnz .LBB0_11
; %bb.12:
	s_or_b32 exec_lo, exec_lo, s10
.LBB0_13:
	s_or_b32 exec_lo, exec_lo, s0
.LBB0_14:
	s_or_b32 exec_lo, exec_lo, s9
	v_add_co_u32 v4, vcc_lo, v2, s7
	v_add_co_ci_u32_e64 v5, null, s8, v3, vcc_lo
	v_mul_lo_u32 v6, v4, v3
	v_mad_u64_u32 v[3:4], null, v4, v2, 0
	v_mul_lo_u32 v5, v5, v2
	v_add3_u32 v4, v4, v6, v5
	v_ashrrev_i64 v[4:5], 1, v[3:4]
	v_sub_co_u32 v4, vcc_lo, v0, v4
	v_sub_co_ci_u32_e64 v3, null, v1, v5, vcc_lo
.LBB0_15:
	s_or_b32 exec_lo, exec_lo, s1
	v_lshlrev_b64 v[0:1], 2, v[0:1]
	s_lshl_b64 s[0:1], s[2:3], 2
	v_add_nc_u32_e32 v5, s6, v2
	v_add_co_u32 v0, vcc_lo, s4, v0
	v_add_co_ci_u32_e64 v1, null, s5, v1, vcc_lo
	v_add_co_u32 v2, vcc_lo, v0, s0
	v_add_co_ci_u32_e64 v3, null, s1, v1, vcc_lo
	global_store_dword v[0:1], v5, off
	global_store_dword v[2:3], v4, off
.LBB0_16:
	s_endpgm
	.section	.rodata,"a",@progbits
	.p2align	6, 0x0
	.amdhsa_kernel _ZN2at6native19tril_indices_kernelIiEEvPT_lllll
		.amdhsa_group_segment_fixed_size 0
		.amdhsa_private_segment_fixed_size 0
		.amdhsa_kernarg_size 304
		.amdhsa_user_sgpr_count 6
		.amdhsa_user_sgpr_private_segment_buffer 1
		.amdhsa_user_sgpr_dispatch_ptr 0
		.amdhsa_user_sgpr_queue_ptr 0
		.amdhsa_user_sgpr_kernarg_segment_ptr 1
		.amdhsa_user_sgpr_dispatch_id 0
		.amdhsa_user_sgpr_flat_scratch_init 0
		.amdhsa_user_sgpr_private_segment_size 0
		.amdhsa_wavefront_size32 1
		.amdhsa_uses_dynamic_stack 0
		.amdhsa_system_sgpr_private_segment_wavefront_offset 0
		.amdhsa_system_sgpr_workgroup_id_x 1
		.amdhsa_system_sgpr_workgroup_id_y 0
		.amdhsa_system_sgpr_workgroup_id_z 0
		.amdhsa_system_sgpr_workgroup_info 0
		.amdhsa_system_vgpr_workitem_id 0
		.amdhsa_next_free_vgpr 15
		.amdhsa_next_free_sgpr 25
		.amdhsa_reserve_vcc 1
		.amdhsa_reserve_flat_scratch 0
		.amdhsa_float_round_mode_32 0
		.amdhsa_float_round_mode_16_64 0
		.amdhsa_float_denorm_mode_32 3
		.amdhsa_float_denorm_mode_16_64 3
		.amdhsa_dx10_clamp 1
		.amdhsa_ieee_mode 1
		.amdhsa_fp16_overflow 0
		.amdhsa_workgroup_processor_mode 1
		.amdhsa_memory_ordered 1
		.amdhsa_forward_progress 1
		.amdhsa_shared_vgpr_count 0
		.amdhsa_exception_fp_ieee_invalid_op 0
		.amdhsa_exception_fp_denorm_src 0
		.amdhsa_exception_fp_ieee_div_zero 0
		.amdhsa_exception_fp_ieee_overflow 0
		.amdhsa_exception_fp_ieee_underflow 0
		.amdhsa_exception_fp_ieee_inexact 0
		.amdhsa_exception_int_div_zero 0
	.end_amdhsa_kernel
	.section	.text._ZN2at6native19tril_indices_kernelIiEEvPT_lllll,"axG",@progbits,_ZN2at6native19tril_indices_kernelIiEEvPT_lllll,comdat
.Lfunc_end0:
	.size	_ZN2at6native19tril_indices_kernelIiEEvPT_lllll, .Lfunc_end0-_ZN2at6native19tril_indices_kernelIiEEvPT_lllll
                                        ; -- End function
	.set _ZN2at6native19tril_indices_kernelIiEEvPT_lllll.num_vgpr, 15
	.set _ZN2at6native19tril_indices_kernelIiEEvPT_lllll.num_agpr, 0
	.set _ZN2at6native19tril_indices_kernelIiEEvPT_lllll.numbered_sgpr, 25
	.set _ZN2at6native19tril_indices_kernelIiEEvPT_lllll.num_named_barrier, 0
	.set _ZN2at6native19tril_indices_kernelIiEEvPT_lllll.private_seg_size, 0
	.set _ZN2at6native19tril_indices_kernelIiEEvPT_lllll.uses_vcc, 1
	.set _ZN2at6native19tril_indices_kernelIiEEvPT_lllll.uses_flat_scratch, 0
	.set _ZN2at6native19tril_indices_kernelIiEEvPT_lllll.has_dyn_sized_stack, 0
	.set _ZN2at6native19tril_indices_kernelIiEEvPT_lllll.has_recursion, 0
	.set _ZN2at6native19tril_indices_kernelIiEEvPT_lllll.has_indirect_call, 0
	.section	.AMDGPU.csdata,"",@progbits
; Kernel info:
; codeLenInByte = 2008
; TotalNumSgprs: 27
; NumVgprs: 15
; ScratchSize: 0
; MemoryBound: 0
; FloatMode: 240
; IeeeMode: 1
; LDSByteSize: 0 bytes/workgroup (compile time only)
; SGPRBlocks: 0
; VGPRBlocks: 1
; NumSGPRsForWavesPerEU: 27
; NumVGPRsForWavesPerEU: 15
; Occupancy: 16
; WaveLimiterHint : 0
; COMPUTE_PGM_RSRC2:SCRATCH_EN: 0
; COMPUTE_PGM_RSRC2:USER_SGPR: 6
; COMPUTE_PGM_RSRC2:TRAP_HANDLER: 0
; COMPUTE_PGM_RSRC2:TGID_X_EN: 1
; COMPUTE_PGM_RSRC2:TGID_Y_EN: 0
; COMPUTE_PGM_RSRC2:TGID_Z_EN: 0
; COMPUTE_PGM_RSRC2:TIDIG_COMP_CNT: 0
	.section	.text._ZN2at6native19tril_indices_kernelIlEEvPT_lllll,"axG",@progbits,_ZN2at6native19tril_indices_kernelIlEEvPT_lllll,comdat
	.protected	_ZN2at6native19tril_indices_kernelIlEEvPT_lllll ; -- Begin function _ZN2at6native19tril_indices_kernelIlEEvPT_lllll
	.globl	_ZN2at6native19tril_indices_kernelIlEEvPT_lllll
	.p2align	8
	.type	_ZN2at6native19tril_indices_kernelIlEEvPT_lllll,@function
_ZN2at6native19tril_indices_kernelIlEEvPT_lllll: ; @_ZN2at6native19tril_indices_kernelIlEEvPT_lllll
; %bb.0:
	s_clause 0x1
	s_load_dword s7, s[4:5], 0x3c
	s_load_dwordx4 s[0:3], s[4:5], 0x20
	v_mov_b32_e32 v1, 0
	s_waitcnt lgkmcnt(0)
	s_and_b32 s7, s7, 0xffff
	v_mad_u64_u32 v[0:1], null, s7, s6, v[0:1]
	s_mov_b32 s6, exec_lo
	v_cmpx_gt_i64_e64 s[2:3], v[0:1]
	s_cbranch_execz .LBB1_16
; %bb.1:
	s_load_dwordx8 s[4:11], s[4:5], 0x0
                                        ; implicit-def: $vgpr6_vgpr7
                                        ; implicit-def: $vgpr4_vgpr5
	s_mov_b32 s12, exec_lo
	v_cmpx_le_i64_e64 s[0:1], v[0:1]
	s_xor_b32 s16, exec_lo, s12
	s_cbranch_execz .LBB1_7
; %bb.2:
	v_sub_co_u32 v6, vcc_lo, v0, s0
	v_subrev_co_ci_u32_e64 v7, null, s1, v1, vcc_lo
	v_mov_b32_e32 v2, 0
	s_waitcnt lgkmcnt(0)
	v_or_b32_e32 v3, s11, v7
	v_cmp_ne_u64_e32 vcc_lo, 0, v[2:3]
                                        ; implicit-def: $vgpr2_vgpr3
	s_and_saveexec_b32 s0, vcc_lo
	s_xor_b32 s1, exec_lo, s0
	s_cbranch_execz .LBB1_4
; %bb.3:
	s_ashr_i32 s12, s11, 31
	v_ashrrev_i32_e32 v10, 31, v7
	s_add_u32 s14, s10, s12
	s_mov_b32 s13, s12
	s_addc_u32 s15, s11, s12
	s_xor_b64 s[14:15], s[14:15], s[12:13]
	v_add_co_u32 v4, vcc_lo, v6, v10
	v_cvt_f32_u32_e32 v2, s14
	v_cvt_f32_u32_e32 v3, s15
	s_sub_u32 s17, 0, s14
	s_subb_u32 s18, 0, s15
	v_add_co_ci_u32_e64 v5, null, v7, v10, vcc_lo
	v_fmamk_f32 v2, v3, 0x4f800000, v2
	v_xor_b32_e32 v11, v4, v10
	v_xor_b32_e32 v12, v5, v10
	v_rcp_f32_e32 v2, v2
	v_mul_f32_e32 v2, 0x5f7ffffc, v2
	v_mul_f32_e32 v3, 0x2f800000, v2
	v_trunc_f32_e32 v3, v3
	v_fmamk_f32 v2, v3, 0xcf800000, v2
	v_cvt_u32_f32_e32 v3, v3
	v_cvt_u32_f32_e32 v2, v2
	v_readfirstlane_b32 s0, v3
	v_readfirstlane_b32 s13, v2
	s_mul_i32 s19, s17, s0
	s_mul_hi_u32 s21, s17, s13
	s_mul_i32 s20, s18, s13
	s_add_i32 s19, s21, s19
	s_mul_i32 s22, s17, s13
	s_add_i32 s19, s19, s20
	s_mul_hi_u32 s21, s13, s22
	s_mul_i32 s24, s13, s19
	s_mul_hi_u32 s23, s0, s22
	s_mul_i32 s20, s0, s22
	s_mul_hi_u32 s22, s13, s19
	s_add_u32 s21, s21, s24
	s_addc_u32 s22, 0, s22
	s_mul_hi_u32 s25, s0, s19
	s_add_u32 s20, s21, s20
	s_mul_i32 s19, s0, s19
	s_addc_u32 s20, s22, s23
	s_addc_u32 s21, s25, 0
	s_add_u32 s19, s20, s19
	s_addc_u32 s20, 0, s21
	s_add_u32 s13, s13, s19
	s_cselect_b32 s19, -1, 0
	s_mul_hi_u32 s21, s17, s13
	s_cmp_lg_u32 s19, 0
	s_mul_i32 s19, s17, s13
	s_addc_u32 s0, s0, s20
	s_mul_i32 s18, s18, s13
	s_mul_i32 s17, s17, s0
	s_mul_hi_u32 s20, s13, s19
	s_add_i32 s17, s21, s17
	s_mul_hi_u32 s21, s0, s19
	s_add_i32 s17, s17, s18
	s_mul_i32 s18, s0, s19
	s_mul_i32 s23, s13, s17
	s_mul_hi_u32 s22, s13, s17
	s_add_u32 s20, s20, s23
	s_addc_u32 s22, 0, s22
	s_mul_hi_u32 s19, s0, s17
	s_add_u32 s18, s20, s18
	s_mul_i32 s17, s0, s17
	s_addc_u32 s18, s22, s21
	s_addc_u32 s19, s19, 0
	s_add_u32 s17, s18, s17
	s_addc_u32 s18, 0, s19
	s_add_u32 s13, s13, s17
	s_cselect_b32 s17, -1, 0
	v_mul_hi_u32 v13, v11, s13
	s_cmp_lg_u32 s17, 0
	v_mad_u64_u32 v[4:5], null, v12, s13, 0
	s_addc_u32 s0, s0, s18
	v_mad_u64_u32 v[2:3], null, v11, s0, 0
	v_mad_u64_u32 v[8:9], null, v12, s0, 0
	v_add_co_u32 v2, vcc_lo, v13, v2
	v_add_co_ci_u32_e64 v3, null, 0, v3, vcc_lo
	v_add_co_u32 v2, vcc_lo, v2, v4
	v_add_co_ci_u32_e32 v2, vcc_lo, v3, v5, vcc_lo
	v_add_co_ci_u32_e32 v3, vcc_lo, 0, v9, vcc_lo
	v_add_co_u32 v4, vcc_lo, v2, v8
	v_add_co_ci_u32_e64 v5, null, 0, v3, vcc_lo
	v_mul_lo_u32 v8, s15, v4
	v_mad_u64_u32 v[2:3], null, s14, v4, 0
	v_mul_lo_u32 v9, s14, v5
	v_sub_co_u32 v2, vcc_lo, v11, v2
	v_add3_u32 v3, v3, v9, v8
	v_add_co_u32 v9, s0, v4, 2
	v_add_co_ci_u32_e64 v11, null, 0, v5, s0
	v_sub_nc_u32_e32 v8, v12, v3
	v_sub_co_u32 v13, s0, v2, s14
	v_sub_co_ci_u32_e64 v3, null, v12, v3, vcc_lo
	v_subrev_co_ci_u32_e64 v8, null, s15, v8, vcc_lo
	v_cmp_le_u32_e32 vcc_lo, s14, v13
	v_subrev_co_ci_u32_e64 v8, null, 0, v8, s0
	v_cndmask_b32_e64 v12, 0, -1, vcc_lo
	v_cmp_le_u32_e32 vcc_lo, s15, v8
	v_cndmask_b32_e64 v13, 0, -1, vcc_lo
	v_cmp_le_u32_e32 vcc_lo, s14, v2
	v_cndmask_b32_e64 v2, 0, -1, vcc_lo
	v_cmp_le_u32_e32 vcc_lo, s15, v3
	v_cndmask_b32_e64 v14, 0, -1, vcc_lo
	v_cmp_eq_u32_e32 vcc_lo, s15, v8
	v_cndmask_b32_e32 v8, v13, v12, vcc_lo
	v_add_co_u32 v12, vcc_lo, v4, 1
	v_add_co_ci_u32_e64 v13, null, 0, v5, vcc_lo
	v_cmp_eq_u32_e32 vcc_lo, s15, v3
	v_cndmask_b32_e32 v2, v14, v2, vcc_lo
	v_cmp_ne_u32_e32 vcc_lo, 0, v8
	v_xor_b32_e32 v8, s12, v10
	v_cmp_ne_u32_e64 s0, 0, v2
	v_cndmask_b32_e32 v2, v12, v9, vcc_lo
	v_cndmask_b32_e32 v3, v13, v11, vcc_lo
	v_cndmask_b32_e64 v2, v4, v2, s0
	v_cndmask_b32_e64 v3, v5, v3, s0
	v_xor_b32_e32 v2, v2, v8
	v_xor_b32_e32 v3, v3, v8
	v_sub_co_u32 v2, vcc_lo, v2, v8
	v_sub_co_ci_u32_e64 v3, null, v3, v8, vcc_lo
.LBB1_4:
	s_andn2_saveexec_b32 s0, s1
	s_cbranch_execz .LBB1_6
; %bb.5:
	v_cvt_f32_u32_e32 v2, s10
	s_sub_i32 s1, 0, s10
	v_rcp_iflag_f32_e32 v2, v2
	v_mul_f32_e32 v2, 0x4f7ffffe, v2
	v_cvt_u32_f32_e32 v2, v2
	v_mul_lo_u32 v3, s1, v2
	v_mul_hi_u32 v3, v2, v3
	v_add_nc_u32_e32 v2, v2, v3
	v_mul_hi_u32 v2, v6, v2
	v_mul_lo_u32 v3, v2, s10
	v_add_nc_u32_e32 v4, 1, v2
	v_sub_nc_u32_e32 v3, v6, v3
	v_subrev_nc_u32_e32 v5, s10, v3
	v_cmp_le_u32_e32 vcc_lo, s10, v3
	v_cndmask_b32_e32 v3, v3, v5, vcc_lo
	v_cndmask_b32_e32 v2, v2, v4, vcc_lo
	v_cmp_le_u32_e32 vcc_lo, s10, v3
	v_add_nc_u32_e32 v4, 1, v2
	v_mov_b32_e32 v3, 0
	v_cndmask_b32_e32 v2, v2, v4, vcc_lo
.LBB1_6:
	s_or_b32 exec_lo, exec_lo, s0
	v_mul_lo_u32 v4, v3, s10
	v_mul_lo_u32 v5, v2, s11
	v_mad_u64_u32 v[8:9], null, v2, s10, 0
	s_sub_u32 s0, s10, s8
	s_subb_u32 s1, s11, s9
	s_add_u32 s0, s0, 1
	s_addc_u32 s1, s1, 0
	v_add3_u32 v9, v9, v5, v4
	v_add_co_u32 v4, vcc_lo, s0, v2
	v_add_co_ci_u32_e64 v5, null, s1, v3, vcc_lo
	v_sub_co_u32 v6, vcc_lo, v6, v8
	v_sub_co_ci_u32_e64 v7, null, v7, v9, vcc_lo
.LBB1_7:
	s_or_saveexec_b32 s1, s16
	v_lshlrev_b64 v[2:3], 3, v[0:1]
	s_xor_b32 exec_lo, exec_lo, s1
	s_cbranch_execz .LBB1_15
; %bb.8:
	s_waitcnt lgkmcnt(0)
	s_lshl_b64 s[10:11], s[8:9], 1
	s_add_u32 s8, s10, -1
	s_addc_u32 s9, s11, -1
	v_mad_u64_u32 v[6:7], null, s8, s8, v[2:3]
	s_mul_i32 s0, s8, s9
	v_add3_u32 v7, s0, s0, v7
	v_cvt_f64_u32_e32 v[8:9], v6
	s_sub_u32 s0, 1, s10
	s_subb_u32 s10, 0, s11
	v_cvt_f64_i32_e32 v[14:15], s10
	v_cvt_f64_i32_e32 v[4:5], v7
	s_mov_b32 s10, exec_lo
	v_ldexp_f64 v[4:5], v[4:5], 32
	v_add_f64 v[4:5], v[4:5], v[8:9]
	v_cmp_gt_f64_e32 vcc_lo, 0x10000000, v[4:5]
	v_cndmask_b32_e64 v8, 0, 0x100, vcc_lo
	v_ldexp_f64 v[4:5], v[4:5], v8
	v_rsq_f64_e32 v[8:9], v[4:5]
	v_mul_f64 v[10:11], v[4:5], v[8:9]
	v_mul_f64 v[8:9], v[8:9], 0.5
	v_fma_f64 v[12:13], -v[8:9], v[10:11], 0.5
	v_fma_f64 v[10:11], v[10:11], v[12:13], v[10:11]
	v_fma_f64 v[8:9], v[8:9], v[12:13], v[8:9]
	v_fma_f64 v[12:13], -v[10:11], v[10:11], v[4:5]
	v_fma_f64 v[10:11], v[12:13], v[8:9], v[10:11]
	v_fma_f64 v[12:13], -v[10:11], v[10:11], v[4:5]
	v_fma_f64 v[8:9], v[12:13], v[8:9], v[10:11]
	v_cvt_f64_u32_e32 v[10:11], s0
	v_ldexp_f64 v[12:13], v[14:15], 32
	v_cndmask_b32_e64 v14, 0, 0xffffff80, vcc_lo
	v_cmp_class_f64_e64 vcc_lo, v[4:5], 0x260
	v_ldexp_f64 v[8:9], v[8:9], v14
	v_add_f64 v[10:11], v[12:13], v[10:11]
	v_cndmask_b32_e32 v9, v9, v5, vcc_lo
	v_cndmask_b32_e32 v8, v8, v4, vcc_lo
	v_add_f64 v[4:5], v[8:9], v[10:11]
	v_mul_f64 v[10:11], v[8:9], v[8:9]
	v_mul_f64 v[4:5], v[4:5], 0.5
	v_trunc_f64_e32 v[10:11], v[10:11]
	v_floor_f64_e32 v[4:5], v[4:5]
	v_ldexp_f64 v[12:13], v[10:11], 0xffffffe0
	v_ldexp_f64 v[14:15], v[4:5], 0xffffffe0
	v_floor_f64_e32 v[12:13], v[12:13]
	v_floor_f64_e32 v[14:15], v[14:15]
	v_fma_f64 v[10:11], 0xc1f00000, v[12:13], v[10:11]
	v_cvt_i32_f64_e32 v12, v[12:13]
	v_fma_f64 v[4:5], 0xc1f00000, v[14:15], v[4:5]
	v_cvt_u32_f64_e32 v11, v[10:11]
	v_cvt_u32_f64_e32 v4, v[4:5]
	v_cvt_i32_f64_e32 v5, v[14:15]
	v_cmpx_ne_u64_e64 v[6:7], v[11:12]
	s_cbranch_execz .LBB1_14
; %bb.9:
	v_floor_f64_e32 v[8:9], v[8:9]
	v_ldexp_f64 v[10:11], v[8:9], 0xffffffe0
	v_floor_f64_e32 v[10:11], v[10:11]
	v_fma_f64 v[8:9], 0xc1f00000, v[10:11], v[8:9]
	v_cvt_i32_f64_e32 v10, v[10:11]
	v_cvt_u32_f64_e32 v8, v[8:9]
	v_mul_lo_u32 v10, v8, v10
	v_mad_u64_u32 v[8:9], null, v8, v8, 0
	v_add3_u32 v9, v9, v10, v10
	v_sub_co_u32 v8, vcc_lo, v6, v8
	v_sub_co_ci_u32_e64 v6, null, v7, v9, vcc_lo
	v_cvt_f64_u32_e32 v[8:9], v8
	v_cvt_f64_i32_e32 v[6:7], v6
	v_ldexp_f64 v[6:7], v[6:7], 32
	v_add_f64 v[6:7], v[6:7], v[8:9]
	v_cmp_gt_f64_e64 s0, 0x10000000, |v[6:7]|
	v_cndmask_b32_e64 v8, 0, 0x100, s0
	v_ldexp_f64 v[6:7], |v[6:7]|, v8
	v_rsq_f64_e32 v[8:9], v[6:7]
	v_cmp_class_f64_e64 vcc_lo, v[6:7], 0x260
	v_mul_f64 v[10:11], v[6:7], v[8:9]
	v_mul_f64 v[8:9], v[8:9], 0.5
	v_fma_f64 v[12:13], -v[8:9], v[10:11], 0.5
	v_fma_f64 v[10:11], v[10:11], v[12:13], v[10:11]
	v_fma_f64 v[8:9], v[8:9], v[12:13], v[8:9]
	v_fma_f64 v[12:13], -v[10:11], v[10:11], v[6:7]
	v_fma_f64 v[10:11], v[12:13], v[8:9], v[10:11]
	v_fma_f64 v[12:13], -v[10:11], v[10:11], v[6:7]
	v_fma_f64 v[8:9], v[12:13], v[8:9], v[10:11]
	v_cndmask_b32_e64 v10, 0, 0xffffff80, s0
	v_ldexp_f64 v[8:9], v[8:9], v10
	v_cndmask_b32_e32 v7, v9, v7, vcc_lo
	v_cndmask_b32_e32 v6, v8, v6, vcc_lo
	v_ceil_f64_e32 v[6:7], v[6:7]
	v_ldexp_f64 v[8:9], v[6:7], 0xffffffe0
	v_floor_f64_e32 v[8:9], v[8:9]
	v_fma_f64 v[6:7], 0xc1f00000, v[8:9], v[6:7]
	v_cvt_u32_f64_e32 v6, v[6:7]
	v_cvt_i32_f64_e32 v7, v[8:9]
	v_sub_co_u32 v8, vcc_lo, v4, v6
	v_sub_co_ci_u32_e64 v9, null, v5, v7, vcc_lo
	v_cmp_gt_i64_e32 vcc_lo, v[4:5], v[6:7]
	v_add_co_u32 v6, s0, v4, v6
	v_add_co_ci_u32_e64 v7, null, v5, v7, s0
	s_mov_b32 s0, exec_lo
	v_cndmask_b32_e32 v4, 0, v8, vcc_lo
	v_cndmask_b32_e32 v5, 0, v9, vcc_lo
	v_add_co_u32 v6, vcc_lo, v6, 1
	v_add_co_ci_u32_e64 v7, null, 0, v7, vcc_lo
	v_add_co_u32 v8, vcc_lo, v4, 1
	v_add_co_ci_u32_e64 v9, null, 0, v5, vcc_lo
	v_cmpx_lt_i64_e64 v[8:9], v[6:7]
	s_cbranch_execz .LBB1_13
; %bb.10:
	v_lshlrev_b64 v[8:9], 1, v[0:1]
	s_mov_b32 s11, 0
	.p2align	6
.LBB1_11:                               ; =>This Inner Loop Header: Depth=1
	v_add_co_u32 v10, vcc_lo, v4, v6
	v_add_co_ci_u32_e64 v11, null, v5, v7, vcc_lo
	v_ashrrev_i64 v[10:11], 1, v[10:11]
	v_add_co_u32 v12, vcc_lo, v10, s8
	v_add_co_ci_u32_e64 v13, null, s9, v11, vcc_lo
	v_mul_lo_u32 v15, v12, v11
	v_mul_lo_u32 v14, v13, v10
	v_mad_u64_u32 v[12:13], null, v12, v10, 0
	v_add3_u32 v13, v13, v15, v14
	v_cmp_gt_i64_e32 vcc_lo, v[12:13], v[8:9]
	v_cndmask_b32_e32 v4, v10, v4, vcc_lo
	v_cndmask_b32_e32 v5, v11, v5, vcc_lo
	;; [unrolled: 1-line block ×4, first 2 shown]
	v_add_co_u32 v10, vcc_lo, v4, 1
	v_add_co_ci_u32_e64 v11, null, 0, v5, vcc_lo
	v_cmp_ge_i64_e32 vcc_lo, v[10:11], v[6:7]
	s_or_b32 s11, vcc_lo, s11
	s_andn2_b32 exec_lo, exec_lo, s11
	s_cbranch_execnz .LBB1_11
; %bb.12:
	s_or_b32 exec_lo, exec_lo, s11
.LBB1_13:
	s_or_b32 exec_lo, exec_lo, s0
.LBB1_14:
	s_or_b32 exec_lo, exec_lo, s10
	v_add_co_u32 v6, vcc_lo, v4, s8
	v_add_co_ci_u32_e64 v7, null, s9, v5, vcc_lo
	v_mul_lo_u32 v9, v6, v5
	v_mul_lo_u32 v8, v7, v4
	v_mad_u64_u32 v[6:7], null, v6, v4, 0
	v_add3_u32 v7, v7, v9, v8
	v_ashrrev_i64 v[6:7], 1, v[6:7]
	v_sub_co_u32 v6, vcc_lo, v0, v6
	v_sub_co_ci_u32_e64 v7, null, v1, v7, vcc_lo
.LBB1_15:
	s_or_b32 exec_lo, exec_lo, s1
	s_waitcnt lgkmcnt(0)
	v_add_co_u32 v0, vcc_lo, v4, s6
	v_add_co_ci_u32_e64 v1, null, s7, v5, vcc_lo
	v_add_co_u32 v2, vcc_lo, s4, v2
	v_add_co_ci_u32_e64 v3, null, s5, v3, vcc_lo
	s_lshl_b64 s[0:1], s[2:3], 3
	v_add_co_u32 v4, vcc_lo, v2, s0
	v_add_co_ci_u32_e64 v5, null, s1, v3, vcc_lo
	global_store_dwordx2 v[2:3], v[0:1], off
	global_store_dwordx2 v[4:5], v[6:7], off
.LBB1_16:
	s_endpgm
	.section	.rodata,"a",@progbits
	.p2align	6, 0x0
	.amdhsa_kernel _ZN2at6native19tril_indices_kernelIlEEvPT_lllll
		.amdhsa_group_segment_fixed_size 0
		.amdhsa_private_segment_fixed_size 0
		.amdhsa_kernarg_size 304
		.amdhsa_user_sgpr_count 6
		.amdhsa_user_sgpr_private_segment_buffer 1
		.amdhsa_user_sgpr_dispatch_ptr 0
		.amdhsa_user_sgpr_queue_ptr 0
		.amdhsa_user_sgpr_kernarg_segment_ptr 1
		.amdhsa_user_sgpr_dispatch_id 0
		.amdhsa_user_sgpr_flat_scratch_init 0
		.amdhsa_user_sgpr_private_segment_size 0
		.amdhsa_wavefront_size32 1
		.amdhsa_uses_dynamic_stack 0
		.amdhsa_system_sgpr_private_segment_wavefront_offset 0
		.amdhsa_system_sgpr_workgroup_id_x 1
		.amdhsa_system_sgpr_workgroup_id_y 0
		.amdhsa_system_sgpr_workgroup_id_z 0
		.amdhsa_system_sgpr_workgroup_info 0
		.amdhsa_system_vgpr_workitem_id 0
		.amdhsa_next_free_vgpr 16
		.amdhsa_next_free_sgpr 26
		.amdhsa_reserve_vcc 1
		.amdhsa_reserve_flat_scratch 0
		.amdhsa_float_round_mode_32 0
		.amdhsa_float_round_mode_16_64 0
		.amdhsa_float_denorm_mode_32 3
		.amdhsa_float_denorm_mode_16_64 3
		.amdhsa_dx10_clamp 1
		.amdhsa_ieee_mode 1
		.amdhsa_fp16_overflow 0
		.amdhsa_workgroup_processor_mode 1
		.amdhsa_memory_ordered 1
		.amdhsa_forward_progress 1
		.amdhsa_shared_vgpr_count 0
		.amdhsa_exception_fp_ieee_invalid_op 0
		.amdhsa_exception_fp_denorm_src 0
		.amdhsa_exception_fp_ieee_div_zero 0
		.amdhsa_exception_fp_ieee_overflow 0
		.amdhsa_exception_fp_ieee_underflow 0
		.amdhsa_exception_fp_ieee_inexact 0
		.amdhsa_exception_int_div_zero 0
	.end_amdhsa_kernel
	.section	.text._ZN2at6native19tril_indices_kernelIlEEvPT_lllll,"axG",@progbits,_ZN2at6native19tril_indices_kernelIlEEvPT_lllll,comdat
.Lfunc_end1:
	.size	_ZN2at6native19tril_indices_kernelIlEEvPT_lllll, .Lfunc_end1-_ZN2at6native19tril_indices_kernelIlEEvPT_lllll
                                        ; -- End function
	.set _ZN2at6native19tril_indices_kernelIlEEvPT_lllll.num_vgpr, 16
	.set _ZN2at6native19tril_indices_kernelIlEEvPT_lllll.num_agpr, 0
	.set _ZN2at6native19tril_indices_kernelIlEEvPT_lllll.numbered_sgpr, 26
	.set _ZN2at6native19tril_indices_kernelIlEEvPT_lllll.num_named_barrier, 0
	.set _ZN2at6native19tril_indices_kernelIlEEvPT_lllll.private_seg_size, 0
	.set _ZN2at6native19tril_indices_kernelIlEEvPT_lllll.uses_vcc, 1
	.set _ZN2at6native19tril_indices_kernelIlEEvPT_lllll.uses_flat_scratch, 0
	.set _ZN2at6native19tril_indices_kernelIlEEvPT_lllll.has_dyn_sized_stack, 0
	.set _ZN2at6native19tril_indices_kernelIlEEvPT_lllll.has_recursion, 0
	.set _ZN2at6native19tril_indices_kernelIlEEvPT_lllll.has_indirect_call, 0
	.section	.AMDGPU.csdata,"",@progbits
; Kernel info:
; codeLenInByte = 2016
; TotalNumSgprs: 28
; NumVgprs: 16
; ScratchSize: 0
; MemoryBound: 0
; FloatMode: 240
; IeeeMode: 1
; LDSByteSize: 0 bytes/workgroup (compile time only)
; SGPRBlocks: 0
; VGPRBlocks: 1
; NumSGPRsForWavesPerEU: 28
; NumVGPRsForWavesPerEU: 16
; Occupancy: 16
; WaveLimiterHint : 0
; COMPUTE_PGM_RSRC2:SCRATCH_EN: 0
; COMPUTE_PGM_RSRC2:USER_SGPR: 6
; COMPUTE_PGM_RSRC2:TRAP_HANDLER: 0
; COMPUTE_PGM_RSRC2:TGID_X_EN: 1
; COMPUTE_PGM_RSRC2:TGID_Y_EN: 0
; COMPUTE_PGM_RSRC2:TGID_Z_EN: 0
; COMPUTE_PGM_RSRC2:TIDIG_COMP_CNT: 0
	.section	.text._ZN2at6native19triu_indices_kernelIiEEvPT_lllll,"axG",@progbits,_ZN2at6native19triu_indices_kernelIiEEvPT_lllll,comdat
	.protected	_ZN2at6native19triu_indices_kernelIiEEvPT_lllll ; -- Begin function _ZN2at6native19triu_indices_kernelIiEEvPT_lllll
	.globl	_ZN2at6native19triu_indices_kernelIiEEvPT_lllll
	.p2align	8
	.type	_ZN2at6native19triu_indices_kernelIiEEvPT_lllll,@function
_ZN2at6native19triu_indices_kernelIiEEvPT_lllll: ; @_ZN2at6native19triu_indices_kernelIiEEvPT_lllll
; %bb.0:
	s_clause 0x1
	s_load_dword s0, s[4:5], 0x3c
	s_load_dwordx4 s[12:15], s[4:5], 0x20
	v_mov_b32_e32 v1, 0
	s_waitcnt lgkmcnt(0)
	s_and_b32 s0, s0, 0xffff
	v_mad_u64_u32 v[0:1], null, s0, s6, v[0:1]
	s_mov_b32 s0, exec_lo
	v_cmpx_gt_i64_e64 s[14:15], v[0:1]
	s_cbranch_execz .LBB2_19
; %bb.1:
	s_load_dwordx8 s[4:11], s[4:5], 0x0
                                        ; implicit-def: $vgpr6_vgpr7
                                        ; implicit-def: $vgpr2_vgpr3
	s_mov_b32 s0, exec_lo
	v_cmpx_le_i64_e64 s[12:13], v[0:1]
	s_waitcnt lgkmcnt(0)
	s_xor_b32 s7, exec_lo, s0
	s_cbranch_execz .LBB2_12
; %bb.2:
	v_sub_co_u32 v2, vcc_lo, v0, s12
	v_subrev_co_ci_u32_e64 v3, null, s13, v1, vcc_lo
	s_lshl_b64 s[0:1], s[8:9], 1
	s_not_b64 s[2:3], s[0:1]
	v_lshlrev_b64 v[4:5], 3, v[2:3]
	s_mul_i32 s3, s2, s3
	s_mul_hi_u32 s8, s2, s2
	s_mul_i32 s2, s2, s2
	s_add_i32 s8, s8, s3
	v_cvt_f64_i32_e32 v[14:15], s1
	s_add_i32 s8, s8, s3
	v_sub_co_u32 v6, vcc_lo, s2, v4
	v_sub_co_ci_u32_e64 v7, null, s8, v5, vcc_lo
	s_or_b32 s16, s0, 1
	v_cvt_f64_u32_e32 v[8:9], v6
	s_mov_b32 s2, 0
	v_cvt_f64_i32_e32 v[4:5], v7
	s_mov_b32 s3, exec_lo
	v_ldexp_f64 v[4:5], v[4:5], 32
	v_add_f64 v[4:5], v[4:5], v[8:9]
	v_cmp_gt_f64_e32 vcc_lo, 0x10000000, v[4:5]
	v_cndmask_b32_e64 v8, 0, 0x100, vcc_lo
	v_ldexp_f64 v[4:5], v[4:5], v8
	v_rsq_f64_e32 v[8:9], v[4:5]
	v_mul_f64 v[10:11], v[4:5], v[8:9]
	v_mul_f64 v[8:9], v[8:9], 0.5
	v_fma_f64 v[12:13], -v[8:9], v[10:11], 0.5
	v_fma_f64 v[10:11], v[10:11], v[12:13], v[10:11]
	v_fma_f64 v[8:9], v[8:9], v[12:13], v[8:9]
	v_fma_f64 v[12:13], -v[10:11], v[10:11], v[4:5]
	v_fma_f64 v[10:11], v[12:13], v[8:9], v[10:11]
	v_fma_f64 v[12:13], -v[10:11], v[10:11], v[4:5]
	v_fma_f64 v[8:9], v[12:13], v[8:9], v[10:11]
	v_cvt_f64_u32_e32 v[10:11], s16
	v_ldexp_f64 v[12:13], v[14:15], 32
	v_cndmask_b32_e64 v14, 0, 0xffffff80, vcc_lo
	v_cmp_class_f64_e64 vcc_lo, v[4:5], 0x260
	v_ldexp_f64 v[8:9], v[8:9], v14
	v_add_f64 v[10:11], v[12:13], v[10:11]
	v_cndmask_b32_e32 v9, v9, v5, vcc_lo
	v_cndmask_b32_e32 v8, v8, v4, vcc_lo
	v_add_f64 v[4:5], v[10:11], -v[8:9]
	v_mul_f64 v[10:11], v[8:9], v[8:9]
	v_mul_f64 v[4:5], v[4:5], 0.5
	v_trunc_f64_e32 v[10:11], v[10:11]
	v_floor_f64_e32 v[4:5], v[4:5]
	v_ldexp_f64 v[12:13], v[10:11], 0xffffffe0
	v_ldexp_f64 v[14:15], v[4:5], 0xffffffe0
	v_floor_f64_e32 v[12:13], v[12:13]
	v_floor_f64_e32 v[14:15], v[14:15]
	v_fma_f64 v[10:11], 0xc1f00000, v[12:13], v[10:11]
	v_cvt_i32_f64_e32 v12, v[12:13]
	v_fma_f64 v[4:5], 0xc1f00000, v[14:15], v[4:5]
	v_cvt_u32_f64_e32 v11, v[10:11]
	v_cvt_u32_f64_e32 v4, v[4:5]
	v_cvt_i32_f64_e32 v5, v[14:15]
	v_cmpx_ne_u64_e64 v[6:7], v[11:12]
	s_cbranch_execz .LBB2_8
; %bb.3:
	v_floor_f64_e32 v[8:9], v[8:9]
	v_ldexp_f64 v[10:11], v[8:9], 0xffffffe0
	v_floor_f64_e32 v[10:11], v[10:11]
	v_fma_f64 v[8:9], 0xc1f00000, v[10:11], v[8:9]
	v_cvt_i32_f64_e32 v10, v[10:11]
	v_cvt_u32_f64_e32 v8, v[8:9]
	v_mul_lo_u32 v10, v8, v10
	v_mad_u64_u32 v[8:9], null, v8, v8, 0
	v_add3_u32 v9, v9, v10, v10
	v_sub_co_u32 v8, vcc_lo, v6, v8
	v_sub_co_ci_u32_e64 v6, null, v7, v9, vcc_lo
	v_cvt_f64_u32_e32 v[8:9], v8
	v_cvt_f64_i32_e32 v[6:7], v6
	v_ldexp_f64 v[6:7], v[6:7], 32
	v_add_f64 v[6:7], v[6:7], v[8:9]
	v_cmp_gt_f64_e64 s0, 0x10000000, |v[6:7]|
	v_cndmask_b32_e64 v8, 0, 0x100, s0
	v_ldexp_f64 v[6:7], |v[6:7]|, v8
	v_rsq_f64_e32 v[8:9], v[6:7]
	v_cmp_class_f64_e64 vcc_lo, v[6:7], 0x260
	v_mul_f64 v[10:11], v[6:7], v[8:9]
	v_mul_f64 v[8:9], v[8:9], 0.5
	v_fma_f64 v[12:13], -v[8:9], v[10:11], 0.5
	v_fma_f64 v[10:11], v[10:11], v[12:13], v[10:11]
	v_fma_f64 v[8:9], v[8:9], v[12:13], v[8:9]
	v_fma_f64 v[12:13], -v[10:11], v[10:11], v[6:7]
	v_fma_f64 v[10:11], v[12:13], v[8:9], v[10:11]
	v_fma_f64 v[12:13], -v[10:11], v[10:11], v[6:7]
	v_fma_f64 v[8:9], v[12:13], v[8:9], v[10:11]
	v_cndmask_b32_e64 v10, 0, 0xffffff80, s0
	v_ldexp_f64 v[8:9], v[8:9], v10
	v_cndmask_b32_e32 v7, v9, v7, vcc_lo
	v_cndmask_b32_e32 v6, v8, v6, vcc_lo
	v_ceil_f64_e32 v[6:7], v[6:7]
	v_ldexp_f64 v[8:9], v[6:7], 0xffffffe0
	v_floor_f64_e32 v[8:9], v[8:9]
	v_fma_f64 v[6:7], 0xc1f00000, v[8:9], v[6:7]
	v_cvt_u32_f64_e32 v6, v[6:7]
	v_cvt_i32_f64_e32 v7, v[8:9]
	v_sub_co_u32 v8, vcc_lo, v4, v6
	v_sub_co_ci_u32_e64 v9, null, v5, v7, vcc_lo
	v_cmp_gt_i64_e32 vcc_lo, v[4:5], v[6:7]
	v_add_co_u32 v6, s0, v4, v6
	v_add_co_ci_u32_e64 v7, null, v5, v7, s0
	s_mov_b32 s0, exec_lo
	v_cndmask_b32_e32 v4, 0, v8, vcc_lo
	v_cndmask_b32_e32 v5, 0, v9, vcc_lo
	v_add_co_u32 v6, vcc_lo, v6, 1
	v_add_co_ci_u32_e64 v7, null, 0, v7, vcc_lo
	v_add_co_u32 v8, vcc_lo, v4, 1
	v_add_co_ci_u32_e64 v9, null, 0, v5, vcc_lo
	v_cmpx_lt_i64_e64 v[8:9], v[6:7]
	s_cbranch_execz .LBB2_7
; %bb.4:
	v_lshlrev_b64 v[8:9], 1, v[2:3]
	s_mov_b32 s8, 0
	.p2align	6
.LBB2_5:                                ; =>This Inner Loop Header: Depth=1
	v_add_co_u32 v10, vcc_lo, v4, v6
	v_add_co_ci_u32_e64 v11, null, v5, v7, vcc_lo
	v_ashrrev_i64 v[10:11], 1, v[10:11]
	v_sub_co_u32 v12, vcc_lo, s16, v10
	v_sub_co_ci_u32_e64 v13, null, s1, v11, vcc_lo
	v_mul_lo_u32 v15, v12, v11
	v_mul_lo_u32 v14, v13, v10
	v_mad_u64_u32 v[12:13], null, v12, v10, 0
	v_add3_u32 v13, v13, v15, v14
	v_cmp_gt_i64_e32 vcc_lo, v[12:13], v[8:9]
	v_cndmask_b32_e32 v4, v10, v4, vcc_lo
	v_cndmask_b32_e32 v5, v11, v5, vcc_lo
	;; [unrolled: 1-line block ×4, first 2 shown]
	v_add_co_u32 v10, vcc_lo, v4, 1
	v_add_co_ci_u32_e64 v11, null, 0, v5, vcc_lo
	v_cmp_ge_i64_e32 vcc_lo, v[10:11], v[6:7]
	s_or_b32 s8, vcc_lo, s8
	s_andn2_b32 exec_lo, exec_lo, s8
	s_cbranch_execnz .LBB2_5
; %bb.6:
	s_or_b32 exec_lo, exec_lo, s8
.LBB2_7:
	s_or_b32 exec_lo, exec_lo, s0
.LBB2_8:
	s_or_b32 exec_lo, exec_lo, s3
	s_or_b64 s[8:9], s[12:13], s[10:11]
	s_mov_b32 s3, s9
	s_cmp_lg_u64 s[2:3], 0
	s_cbranch_scc0 .LBB2_20
; %bb.9:
	s_ashr_i32 s2, s11, 31
	s_add_u32 s8, s10, s2
	s_mov_b32 s3, s2
	s_addc_u32 s9, s11, s2
	s_xor_b64 s[8:9], s[8:9], s[2:3]
	v_cvt_f32_u32_e32 v6, s8
	v_cvt_f32_u32_e32 v7, s9
	s_sub_u32 s18, 0, s8
	s_subb_u32 s19, 0, s9
	v_fmamk_f32 v6, v7, 0x4f800000, v6
	v_rcp_f32_e32 v6, v6
	v_mul_f32_e32 v6, 0x5f7ffffc, v6
	v_mul_f32_e32 v7, 0x2f800000, v6
	v_trunc_f32_e32 v7, v7
	v_fmamk_f32 v6, v7, 0xcf800000, v6
	v_cvt_u32_f32_e32 v7, v7
	v_cvt_u32_f32_e32 v6, v6
	v_readfirstlane_b32 s0, v7
	v_readfirstlane_b32 s17, v6
	s_mul_i32 s20, s18, s0
	s_mul_hi_u32 s22, s18, s17
	s_mul_i32 s21, s19, s17
	s_add_i32 s20, s22, s20
	s_mul_i32 s23, s18, s17
	s_add_i32 s20, s20, s21
	s_mul_hi_u32 s22, s17, s23
	s_mul_i32 s25, s17, s20
	s_mul_hi_u32 s24, s0, s23
	s_mul_i32 s21, s0, s23
	s_mul_hi_u32 s23, s17, s20
	s_add_u32 s22, s22, s25
	s_addc_u32 s23, 0, s23
	s_mul_hi_u32 s26, s0, s20
	s_add_u32 s21, s22, s21
	s_mul_i32 s20, s0, s20
	s_addc_u32 s21, s23, s24
	s_addc_u32 s22, s26, 0
	s_add_u32 s20, s21, s20
	s_addc_u32 s21, 0, s22
	s_add_u32 s17, s17, s20
	s_cselect_b32 s20, -1, 0
	s_mul_hi_u32 s22, s18, s17
	s_cmp_lg_u32 s20, 0
	s_mul_i32 s20, s18, s17
	s_addc_u32 s0, s0, s21
	s_mul_i32 s19, s19, s17
	s_mul_i32 s18, s18, s0
	s_mul_hi_u32 s21, s17, s20
	s_add_i32 s18, s22, s18
	s_mul_hi_u32 s22, s0, s20
	s_add_i32 s18, s18, s19
	s_mul_i32 s19, s0, s20
	s_mul_i32 s24, s17, s18
	s_mul_hi_u32 s23, s17, s18
	s_add_u32 s21, s21, s24
	s_addc_u32 s23, 0, s23
	s_mul_hi_u32 s20, s0, s18
	s_add_u32 s19, s21, s19
	s_mul_i32 s18, s0, s18
	s_addc_u32 s19, s23, s22
	s_addc_u32 s20, s20, 0
	s_add_u32 s18, s19, s18
	s_addc_u32 s19, 0, s20
	s_add_u32 s17, s17, s18
	s_cselect_b32 s18, -1, 0
	s_cmp_lg_u32 s18, 0
	s_addc_u32 s0, s0, s19
	s_ashr_i32 s18, s13, 31
	s_add_u32 s20, s12, s18
	s_mov_b32 s19, s18
	s_addc_u32 s21, s13, s18
	s_xor_b64 s[20:21], s[20:21], s[18:19]
	s_mul_i32 s22, s20, s0
	s_mul_hi_u32 s23, s20, s17
	s_mul_hi_u32 s13, s20, s0
	s_mul_hi_u32 s25, s21, s17
	s_mul_i32 s17, s21, s17
	s_add_u32 s22, s23, s22
	s_addc_u32 s13, 0, s13
	s_mul_hi_u32 s24, s21, s0
	s_add_u32 s17, s22, s17
	s_mul_i32 s0, s21, s0
	s_addc_u32 s13, s13, s25
	s_addc_u32 s17, s24, 0
	s_add_u32 s0, s13, s0
	s_addc_u32 s13, 0, s17
	s_mul_hi_u32 s17, s8, s0
	s_mul_i32 s22, s8, s13
	s_mul_i32 s23, s9, s0
	s_add_i32 s17, s17, s22
	s_mul_i32 s22, s8, s0
	s_add_i32 s17, s17, s23
	s_sub_i32 s23, s21, s17
	s_sub_u32 s20, s20, s22
	s_cselect_b32 s22, -1, 0
	s_cmp_lg_u32 s22, 0
	s_subb_u32 s23, s23, s9
	s_sub_u32 s24, s20, s8
	s_cselect_b32 s25, -1, 0
	s_cmp_lg_u32 s25, 0
	s_subb_u32 s23, s23, 0
	s_cmp_ge_u32 s23, s9
	s_cselect_b32 s25, -1, 0
	s_cmp_ge_u32 s24, s8
	s_cselect_b32 s24, -1, 0
	s_cmp_eq_u32 s23, s9
	s_cselect_b32 s23, s24, s25
	s_add_u32 s24, s0, 1
	s_addc_u32 s25, s13, 0
	s_add_u32 s26, s0, 2
	s_addc_u32 s27, s13, 0
	s_cmp_lg_u32 s23, 0
	s_cselect_b32 s23, s26, s24
	s_cselect_b32 s24, s27, s25
	s_cmp_lg_u32 s22, 0
	s_subb_u32 s17, s21, s17
	s_cmp_ge_u32 s17, s9
	s_cselect_b32 s21, -1, 0
	s_cmp_ge_u32 s20, s8
	s_cselect_b32 s8, -1, 0
	s_cmp_eq_u32 s17, s9
	s_cselect_b32 s8, s8, s21
	s_cmp_lg_u32 s8, 0
	s_cselect_b32 s9, s24, s13
	s_cselect_b32 s8, s23, s0
	s_xor_b64 s[2:3], s[18:19], s[2:3]
	s_xor_b64 s[8:9], s[8:9], s[2:3]
	s_sub_u32 s2, s8, s2
	s_subb_u32 s3, s9, s3
	s_cbranch_execnz .LBB2_11
.LBB2_10:
	v_cvt_f32_u32_e32 v6, s10
	s_sub_i32 s2, 0, s10
	v_rcp_iflag_f32_e32 v6, v6
	v_mul_f32_e32 v6, 0x4f7ffffe, v6
	v_cvt_u32_f32_e32 v6, v6
	v_readfirstlane_b32 s0, v6
	s_mul_i32 s2, s2, s0
	s_mul_hi_u32 s2, s0, s2
	s_add_i32 s0, s0, s2
	s_mul_hi_u32 s0, s12, s0
	s_mul_i32 s2, s0, s10
	s_add_i32 s3, s0, 1
	s_sub_i32 s2, s12, s2
	s_sub_i32 s8, s2, s10
	s_cmp_ge_u32 s2, s10
	s_cselect_b32 s0, s3, s0
	s_cselect_b32 s2, s8, s2
	s_add_i32 s8, s0, 1
	s_cmp_ge_u32 s2, s10
	s_mov_b32 s3, 0
	s_cselect_b32 s2, s8, s0
.LBB2_11:
	v_sub_co_u32 v6, vcc_lo, s16, v4
	v_sub_co_ci_u32_e64 v7, null, s1, v5, vcc_lo
	v_add_co_u32 v2, vcc_lo, v4, v2
	v_mul_lo_u32 v9, v6, v5
	v_mul_lo_u32 v8, v7, v4
	v_mad_u64_u32 v[6:7], null, v6, v4, 0
	v_add_co_ci_u32_e64 v3, null, v5, v3, vcc_lo
	v_add3_u32 v7, v7, v9, v8
	v_ashrrev_i64 v[6:7], 1, v[6:7]
	v_sub_co_u32 v6, vcc_lo, v2, v6
	v_sub_co_ci_u32_e64 v2, null, v3, v7, vcc_lo
	v_add_co_u32 v2, vcc_lo, s2, v4
	v_add_co_ci_u32_e64 v3, null, s3, v5, vcc_lo
.LBB2_12:
	s_andn2_saveexec_b32 s1, s7
	s_cbranch_execz .LBB2_18
; %bb.13:
	v_or_b32_e32 v3, s11, v1
	v_mov_b32_e32 v2, 0
	v_cmp_ne_u64_e32 vcc_lo, 0, v[2:3]
                                        ; implicit-def: $vgpr2_vgpr3
	s_and_saveexec_b32 s0, vcc_lo
	s_xor_b32 s7, exec_lo, s0
	s_cbranch_execz .LBB2_15
; %bb.14:
	s_ashr_i32 s2, s11, 31
	v_ashrrev_i32_e32 v8, 31, v1
	s_add_u32 s8, s10, s2
	s_mov_b32 s3, s2
	s_addc_u32 s9, s11, s2
	s_xor_b64 s[8:9], s[8:9], s[2:3]
	v_add_co_u32 v4, vcc_lo, v0, v8
	v_cvt_f32_u32_e32 v2, s8
	v_cvt_f32_u32_e32 v3, s9
	s_sub_u32 s12, 0, s8
	s_subb_u32 s13, 0, s9
	v_add_co_ci_u32_e64 v5, null, v1, v8, vcc_lo
	v_fmamk_f32 v2, v3, 0x4f800000, v2
	v_xor_b32_e32 v9, v4, v8
	v_xor_b32_e32 v10, v5, v8
	v_rcp_f32_e32 v2, v2
	v_mul_f32_e32 v2, 0x5f7ffffc, v2
	v_mul_f32_e32 v3, 0x2f800000, v2
	v_trunc_f32_e32 v3, v3
	v_fmamk_f32 v2, v3, 0xcf800000, v2
	v_cvt_u32_f32_e32 v3, v3
	v_cvt_u32_f32_e32 v2, v2
	v_readfirstlane_b32 s0, v3
	v_readfirstlane_b32 s3, v2
	s_mul_i32 s16, s12, s0
	s_mul_hi_u32 s18, s12, s3
	s_mul_i32 s17, s13, s3
	s_add_i32 s16, s18, s16
	s_mul_i32 s19, s12, s3
	s_add_i32 s16, s16, s17
	s_mul_hi_u32 s18, s3, s19
	s_mul_i32 s21, s3, s16
	s_mul_hi_u32 s20, s0, s19
	s_mul_i32 s17, s0, s19
	s_mul_hi_u32 s19, s3, s16
	s_add_u32 s18, s18, s21
	s_addc_u32 s19, 0, s19
	s_mul_hi_u32 s22, s0, s16
	s_add_u32 s17, s18, s17
	s_mul_i32 s16, s0, s16
	s_addc_u32 s17, s19, s20
	s_addc_u32 s18, s22, 0
	s_add_u32 s16, s17, s16
	s_addc_u32 s17, 0, s18
	s_add_u32 s3, s3, s16
	s_cselect_b32 s16, -1, 0
	s_mul_hi_u32 s18, s12, s3
	s_cmp_lg_u32 s16, 0
	s_mul_i32 s16, s12, s3
	s_addc_u32 s0, s0, s17
	s_mul_i32 s13, s13, s3
	s_mul_i32 s12, s12, s0
	s_mul_hi_u32 s17, s3, s16
	s_add_i32 s12, s18, s12
	s_mul_hi_u32 s18, s0, s16
	s_add_i32 s12, s12, s13
	s_mul_i32 s13, s0, s16
	s_mul_i32 s20, s3, s12
	s_mul_hi_u32 s19, s3, s12
	s_add_u32 s17, s17, s20
	s_addc_u32 s19, 0, s19
	s_mul_hi_u32 s16, s0, s12
	s_add_u32 s13, s17, s13
	s_mul_i32 s12, s0, s12
	s_addc_u32 s13, s19, s18
	s_addc_u32 s16, s16, 0
	s_add_u32 s12, s13, s12
	s_addc_u32 s13, 0, s16
	s_add_u32 s3, s3, s12
	s_cselect_b32 s12, -1, 0
	v_mul_hi_u32 v11, v9, s3
	s_cmp_lg_u32 s12, 0
	v_mad_u64_u32 v[4:5], null, v10, s3, 0
	s_addc_u32 s0, s0, s13
	v_mad_u64_u32 v[2:3], null, v9, s0, 0
	v_mad_u64_u32 v[6:7], null, v10, s0, 0
	v_add_co_u32 v2, vcc_lo, v11, v2
	v_add_co_ci_u32_e64 v3, null, 0, v3, vcc_lo
	v_add_co_u32 v2, vcc_lo, v2, v4
	v_add_co_ci_u32_e32 v2, vcc_lo, v3, v5, vcc_lo
	v_add_co_ci_u32_e32 v3, vcc_lo, 0, v7, vcc_lo
	v_add_co_u32 v4, vcc_lo, v2, v6
	v_add_co_ci_u32_e64 v5, null, 0, v3, vcc_lo
	v_mul_lo_u32 v6, s9, v4
	v_mad_u64_u32 v[2:3], null, s8, v4, 0
	v_mul_lo_u32 v7, s8, v5
	v_sub_co_u32 v2, vcc_lo, v9, v2
	v_add3_u32 v3, v3, v7, v6
	v_add_co_u32 v7, s0, v4, 2
	v_add_co_ci_u32_e64 v9, null, 0, v5, s0
	v_sub_nc_u32_e32 v6, v10, v3
	v_sub_co_u32 v11, s0, v2, s8
	v_sub_co_ci_u32_e64 v3, null, v10, v3, vcc_lo
	v_subrev_co_ci_u32_e64 v6, null, s9, v6, vcc_lo
	v_cmp_le_u32_e32 vcc_lo, s8, v11
	v_subrev_co_ci_u32_e64 v6, null, 0, v6, s0
	v_cndmask_b32_e64 v10, 0, -1, vcc_lo
	v_cmp_le_u32_e32 vcc_lo, s9, v6
	v_cndmask_b32_e64 v11, 0, -1, vcc_lo
	v_cmp_le_u32_e32 vcc_lo, s8, v2
	v_cndmask_b32_e64 v2, 0, -1, vcc_lo
	v_cmp_le_u32_e32 vcc_lo, s9, v3
	v_cndmask_b32_e64 v12, 0, -1, vcc_lo
	v_cmp_eq_u32_e32 vcc_lo, s9, v6
	v_cndmask_b32_e32 v6, v11, v10, vcc_lo
	v_add_co_u32 v10, vcc_lo, v4, 1
	v_add_co_ci_u32_e64 v11, null, 0, v5, vcc_lo
	v_cmp_eq_u32_e32 vcc_lo, s9, v3
	v_cndmask_b32_e32 v2, v12, v2, vcc_lo
	v_cmp_ne_u32_e32 vcc_lo, 0, v6
	v_xor_b32_e32 v6, s2, v8
	v_cmp_ne_u32_e64 s0, 0, v2
	v_cndmask_b32_e32 v2, v10, v7, vcc_lo
	v_cndmask_b32_e32 v3, v11, v9, vcc_lo
	v_cndmask_b32_e64 v2, v4, v2, s0
	v_cndmask_b32_e64 v3, v5, v3, s0
	v_xor_b32_e32 v2, v2, v6
	v_xor_b32_e32 v3, v3, v6
	v_sub_co_u32 v2, vcc_lo, v2, v6
	v_sub_co_ci_u32_e64 v3, null, v3, v6, vcc_lo
.LBB2_15:
	s_andn2_saveexec_b32 s0, s7
	s_cbranch_execz .LBB2_17
; %bb.16:
	v_cvt_f32_u32_e32 v2, s10
	s_sub_i32 s2, 0, s10
	v_rcp_iflag_f32_e32 v2, v2
	v_mul_f32_e32 v2, 0x4f7ffffe, v2
	v_cvt_u32_f32_e32 v2, v2
	v_mul_lo_u32 v3, s2, v2
	v_mul_hi_u32 v3, v2, v3
	v_add_nc_u32_e32 v2, v2, v3
	v_mul_hi_u32 v2, v0, v2
	v_mul_lo_u32 v3, v2, s10
	v_add_nc_u32_e32 v4, 1, v2
	v_sub_nc_u32_e32 v3, v0, v3
	v_subrev_nc_u32_e32 v5, s10, v3
	v_cmp_le_u32_e32 vcc_lo, s10, v3
	v_cndmask_b32_e32 v3, v3, v5, vcc_lo
	v_cndmask_b32_e32 v2, v2, v4, vcc_lo
	v_cmp_le_u32_e32 vcc_lo, s10, v3
	v_add_nc_u32_e32 v4, 1, v2
	v_mov_b32_e32 v3, 0
	v_cndmask_b32_e32 v2, v2, v4, vcc_lo
.LBB2_17:
	s_or_b32 exec_lo, exec_lo, s0
	v_mul_lo_u32 v5, v3, s10
	v_mul_lo_u32 v6, v2, s11
	v_mad_u64_u32 v[3:4], null, v2, s10, 0
	v_add3_u32 v4, v4, v6, v5
	v_sub_co_u32 v6, vcc_lo, v0, v3
	v_sub_co_ci_u32_e64 v3, null, v1, v4, vcc_lo
.LBB2_18:
	s_or_b32 exec_lo, exec_lo, s1
	v_lshlrev_b64 v[0:1], 2, v[0:1]
	s_lshl_b64 s[0:1], s[14:15], 2
	v_add_nc_u32_e32 v5, s6, v6
	v_add_co_u32 v0, vcc_lo, s4, v0
	v_add_co_ci_u32_e64 v1, null, s5, v1, vcc_lo
	v_add_co_u32 v3, vcc_lo, v0, s0
	v_add_co_ci_u32_e64 v4, null, s1, v1, vcc_lo
	global_store_dword v[0:1], v2, off
	global_store_dword v[3:4], v5, off
.LBB2_19:
	s_endpgm
.LBB2_20:
                                        ; implicit-def: $sgpr2_sgpr3
	s_branch .LBB2_10
	.section	.rodata,"a",@progbits
	.p2align	6, 0x0
	.amdhsa_kernel _ZN2at6native19triu_indices_kernelIiEEvPT_lllll
		.amdhsa_group_segment_fixed_size 0
		.amdhsa_private_segment_fixed_size 0
		.amdhsa_kernarg_size 304
		.amdhsa_user_sgpr_count 6
		.amdhsa_user_sgpr_private_segment_buffer 1
		.amdhsa_user_sgpr_dispatch_ptr 0
		.amdhsa_user_sgpr_queue_ptr 0
		.amdhsa_user_sgpr_kernarg_segment_ptr 1
		.amdhsa_user_sgpr_dispatch_id 0
		.amdhsa_user_sgpr_flat_scratch_init 0
		.amdhsa_user_sgpr_private_segment_size 0
		.amdhsa_wavefront_size32 1
		.amdhsa_uses_dynamic_stack 0
		.amdhsa_system_sgpr_private_segment_wavefront_offset 0
		.amdhsa_system_sgpr_workgroup_id_x 1
		.amdhsa_system_sgpr_workgroup_id_y 0
		.amdhsa_system_sgpr_workgroup_id_z 0
		.amdhsa_system_sgpr_workgroup_info 0
		.amdhsa_system_vgpr_workitem_id 0
		.amdhsa_next_free_vgpr 16
		.amdhsa_next_free_sgpr 28
		.amdhsa_reserve_vcc 1
		.amdhsa_reserve_flat_scratch 0
		.amdhsa_float_round_mode_32 0
		.amdhsa_float_round_mode_16_64 0
		.amdhsa_float_denorm_mode_32 3
		.amdhsa_float_denorm_mode_16_64 3
		.amdhsa_dx10_clamp 1
		.amdhsa_ieee_mode 1
		.amdhsa_fp16_overflow 0
		.amdhsa_workgroup_processor_mode 1
		.amdhsa_memory_ordered 1
		.amdhsa_forward_progress 1
		.amdhsa_shared_vgpr_count 0
		.amdhsa_exception_fp_ieee_invalid_op 0
		.amdhsa_exception_fp_denorm_src 0
		.amdhsa_exception_fp_ieee_div_zero 0
		.amdhsa_exception_fp_ieee_overflow 0
		.amdhsa_exception_fp_ieee_underflow 0
		.amdhsa_exception_fp_ieee_inexact 0
		.amdhsa_exception_int_div_zero 0
	.end_amdhsa_kernel
	.section	.text._ZN2at6native19triu_indices_kernelIiEEvPT_lllll,"axG",@progbits,_ZN2at6native19triu_indices_kernelIiEEvPT_lllll,comdat
.Lfunc_end2:
	.size	_ZN2at6native19triu_indices_kernelIiEEvPT_lllll, .Lfunc_end2-_ZN2at6native19triu_indices_kernelIiEEvPT_lllll
                                        ; -- End function
	.set _ZN2at6native19triu_indices_kernelIiEEvPT_lllll.num_vgpr, 16
	.set _ZN2at6native19triu_indices_kernelIiEEvPT_lllll.num_agpr, 0
	.set _ZN2at6native19triu_indices_kernelIiEEvPT_lllll.numbered_sgpr, 28
	.set _ZN2at6native19triu_indices_kernelIiEEvPT_lllll.num_named_barrier, 0
	.set _ZN2at6native19triu_indices_kernelIiEEvPT_lllll.private_seg_size, 0
	.set _ZN2at6native19triu_indices_kernelIiEEvPT_lllll.uses_vcc, 1
	.set _ZN2at6native19triu_indices_kernelIiEEvPT_lllll.uses_flat_scratch, 0
	.set _ZN2at6native19triu_indices_kernelIiEEvPT_lllll.has_dyn_sized_stack, 0
	.set _ZN2at6native19triu_indices_kernelIiEEvPT_lllll.has_recursion, 0
	.set _ZN2at6native19triu_indices_kernelIiEEvPT_lllll.has_indirect_call, 0
	.section	.AMDGPU.csdata,"",@progbits
; Kernel info:
; codeLenInByte = 2672
; TotalNumSgprs: 30
; NumVgprs: 16
; ScratchSize: 0
; MemoryBound: 0
; FloatMode: 240
; IeeeMode: 1
; LDSByteSize: 0 bytes/workgroup (compile time only)
; SGPRBlocks: 0
; VGPRBlocks: 1
; NumSGPRsForWavesPerEU: 30
; NumVGPRsForWavesPerEU: 16
; Occupancy: 16
; WaveLimiterHint : 0
; COMPUTE_PGM_RSRC2:SCRATCH_EN: 0
; COMPUTE_PGM_RSRC2:USER_SGPR: 6
; COMPUTE_PGM_RSRC2:TRAP_HANDLER: 0
; COMPUTE_PGM_RSRC2:TGID_X_EN: 1
; COMPUTE_PGM_RSRC2:TGID_Y_EN: 0
; COMPUTE_PGM_RSRC2:TGID_Z_EN: 0
; COMPUTE_PGM_RSRC2:TIDIG_COMP_CNT: 0
	.section	.text._ZN2at6native19triu_indices_kernelIlEEvPT_lllll,"axG",@progbits,_ZN2at6native19triu_indices_kernelIlEEvPT_lllll,comdat
	.protected	_ZN2at6native19triu_indices_kernelIlEEvPT_lllll ; -- Begin function _ZN2at6native19triu_indices_kernelIlEEvPT_lllll
	.globl	_ZN2at6native19triu_indices_kernelIlEEvPT_lllll
	.p2align	8
	.type	_ZN2at6native19triu_indices_kernelIlEEvPT_lllll,@function
_ZN2at6native19triu_indices_kernelIlEEvPT_lllll: ; @_ZN2at6native19triu_indices_kernelIlEEvPT_lllll
; %bb.0:
	s_clause 0x1
	s_load_dword s0, s[4:5], 0x3c
	s_load_dwordx4 s[12:15], s[4:5], 0x20
	v_mov_b32_e32 v1, 0
	s_waitcnt lgkmcnt(0)
	s_and_b32 s0, s0, 0xffff
	v_mad_u64_u32 v[0:1], null, s0, s6, v[0:1]
	s_mov_b32 s0, exec_lo
	v_cmpx_gt_i64_e64 s[14:15], v[0:1]
	s_cbranch_execz .LBB3_19
; %bb.1:
	s_load_dwordx8 s[4:11], s[4:5], 0x0
                                        ; implicit-def: $vgpr6_vgpr7
                                        ; implicit-def: $vgpr2_vgpr3
	s_mov_b32 s0, exec_lo
	v_cmpx_le_i64_e64 s[12:13], v[0:1]
	s_xor_b32 s16, exec_lo, s0
	s_cbranch_execz .LBB3_12
; %bb.2:
	v_sub_co_u32 v2, vcc_lo, v0, s12
	v_subrev_co_ci_u32_e64 v3, null, s13, v1, vcc_lo
	s_waitcnt lgkmcnt(0)
	s_lshl_b64 s[0:1], s[8:9], 1
	s_not_b64 s[2:3], s[0:1]
	v_lshlrev_b64 v[4:5], 3, v[2:3]
	s_mul_i32 s3, s2, s3
	s_mul_hi_u32 s8, s2, s2
	s_mul_i32 s2, s2, s2
	s_add_i32 s8, s8, s3
	v_cvt_f64_i32_e32 v[14:15], s1
	s_add_i32 s8, s8, s3
	v_sub_co_u32 v6, vcc_lo, s2, v4
	v_sub_co_ci_u32_e64 v7, null, s8, v5, vcc_lo
	s_or_b32 s17, s0, 1
	v_cvt_f64_u32_e32 v[8:9], v6
	s_mov_b32 s2, 0
	v_cvt_f64_i32_e32 v[4:5], v7
	s_mov_b32 s3, exec_lo
	v_ldexp_f64 v[4:5], v[4:5], 32
	v_add_f64 v[4:5], v[4:5], v[8:9]
	v_cmp_gt_f64_e32 vcc_lo, 0x10000000, v[4:5]
	v_cndmask_b32_e64 v8, 0, 0x100, vcc_lo
	v_ldexp_f64 v[4:5], v[4:5], v8
	v_rsq_f64_e32 v[8:9], v[4:5]
	v_mul_f64 v[10:11], v[4:5], v[8:9]
	v_mul_f64 v[8:9], v[8:9], 0.5
	v_fma_f64 v[12:13], -v[8:9], v[10:11], 0.5
	v_fma_f64 v[10:11], v[10:11], v[12:13], v[10:11]
	v_fma_f64 v[8:9], v[8:9], v[12:13], v[8:9]
	v_fma_f64 v[12:13], -v[10:11], v[10:11], v[4:5]
	v_fma_f64 v[10:11], v[12:13], v[8:9], v[10:11]
	v_fma_f64 v[12:13], -v[10:11], v[10:11], v[4:5]
	v_fma_f64 v[8:9], v[12:13], v[8:9], v[10:11]
	v_cvt_f64_u32_e32 v[10:11], s17
	v_ldexp_f64 v[12:13], v[14:15], 32
	v_cndmask_b32_e64 v14, 0, 0xffffff80, vcc_lo
	v_cmp_class_f64_e64 vcc_lo, v[4:5], 0x260
	v_ldexp_f64 v[8:9], v[8:9], v14
	v_add_f64 v[10:11], v[12:13], v[10:11]
	v_cndmask_b32_e32 v9, v9, v5, vcc_lo
	v_cndmask_b32_e32 v8, v8, v4, vcc_lo
	v_add_f64 v[4:5], v[10:11], -v[8:9]
	v_mul_f64 v[10:11], v[8:9], v[8:9]
	v_mul_f64 v[4:5], v[4:5], 0.5
	v_trunc_f64_e32 v[10:11], v[10:11]
	v_floor_f64_e32 v[4:5], v[4:5]
	v_ldexp_f64 v[12:13], v[10:11], 0xffffffe0
	v_ldexp_f64 v[14:15], v[4:5], 0xffffffe0
	v_floor_f64_e32 v[12:13], v[12:13]
	v_floor_f64_e32 v[14:15], v[14:15]
	v_fma_f64 v[10:11], 0xc1f00000, v[12:13], v[10:11]
	v_cvt_i32_f64_e32 v12, v[12:13]
	v_fma_f64 v[4:5], 0xc1f00000, v[14:15], v[4:5]
	v_cvt_u32_f64_e32 v11, v[10:11]
	v_cvt_u32_f64_e32 v4, v[4:5]
	v_cvt_i32_f64_e32 v5, v[14:15]
	v_cmpx_ne_u64_e64 v[6:7], v[11:12]
	s_cbranch_execz .LBB3_8
; %bb.3:
	v_floor_f64_e32 v[8:9], v[8:9]
	v_ldexp_f64 v[10:11], v[8:9], 0xffffffe0
	v_floor_f64_e32 v[10:11], v[10:11]
	v_fma_f64 v[8:9], 0xc1f00000, v[10:11], v[8:9]
	v_cvt_i32_f64_e32 v10, v[10:11]
	v_cvt_u32_f64_e32 v8, v[8:9]
	v_mul_lo_u32 v10, v8, v10
	v_mad_u64_u32 v[8:9], null, v8, v8, 0
	v_add3_u32 v9, v9, v10, v10
	v_sub_co_u32 v8, vcc_lo, v6, v8
	v_sub_co_ci_u32_e64 v6, null, v7, v9, vcc_lo
	v_cvt_f64_u32_e32 v[8:9], v8
	v_cvt_f64_i32_e32 v[6:7], v6
	v_ldexp_f64 v[6:7], v[6:7], 32
	v_add_f64 v[6:7], v[6:7], v[8:9]
	v_cmp_gt_f64_e64 s0, 0x10000000, |v[6:7]|
	v_cndmask_b32_e64 v8, 0, 0x100, s0
	v_ldexp_f64 v[6:7], |v[6:7]|, v8
	v_rsq_f64_e32 v[8:9], v[6:7]
	v_cmp_class_f64_e64 vcc_lo, v[6:7], 0x260
	v_mul_f64 v[10:11], v[6:7], v[8:9]
	v_mul_f64 v[8:9], v[8:9], 0.5
	v_fma_f64 v[12:13], -v[8:9], v[10:11], 0.5
	v_fma_f64 v[10:11], v[10:11], v[12:13], v[10:11]
	v_fma_f64 v[8:9], v[8:9], v[12:13], v[8:9]
	v_fma_f64 v[12:13], -v[10:11], v[10:11], v[6:7]
	v_fma_f64 v[10:11], v[12:13], v[8:9], v[10:11]
	v_fma_f64 v[12:13], -v[10:11], v[10:11], v[6:7]
	v_fma_f64 v[8:9], v[12:13], v[8:9], v[10:11]
	v_cndmask_b32_e64 v10, 0, 0xffffff80, s0
	v_ldexp_f64 v[8:9], v[8:9], v10
	v_cndmask_b32_e32 v7, v9, v7, vcc_lo
	v_cndmask_b32_e32 v6, v8, v6, vcc_lo
	v_ceil_f64_e32 v[6:7], v[6:7]
	v_ldexp_f64 v[8:9], v[6:7], 0xffffffe0
	v_floor_f64_e32 v[8:9], v[8:9]
	v_fma_f64 v[6:7], 0xc1f00000, v[8:9], v[6:7]
	v_cvt_u32_f64_e32 v6, v[6:7]
	v_cvt_i32_f64_e32 v7, v[8:9]
	v_sub_co_u32 v8, vcc_lo, v4, v6
	v_sub_co_ci_u32_e64 v9, null, v5, v7, vcc_lo
	v_cmp_gt_i64_e32 vcc_lo, v[4:5], v[6:7]
	v_add_co_u32 v6, s0, v4, v6
	v_add_co_ci_u32_e64 v7, null, v5, v7, s0
	s_mov_b32 s0, exec_lo
	v_cndmask_b32_e32 v4, 0, v8, vcc_lo
	v_cndmask_b32_e32 v5, 0, v9, vcc_lo
	v_add_co_u32 v6, vcc_lo, v6, 1
	v_add_co_ci_u32_e64 v7, null, 0, v7, vcc_lo
	v_add_co_u32 v8, vcc_lo, v4, 1
	v_add_co_ci_u32_e64 v9, null, 0, v5, vcc_lo
	v_cmpx_lt_i64_e64 v[8:9], v[6:7]
	s_cbranch_execz .LBB3_7
; %bb.4:
	v_lshlrev_b64 v[8:9], 1, v[2:3]
	s_mov_b32 s8, 0
	.p2align	6
.LBB3_5:                                ; =>This Inner Loop Header: Depth=1
	v_add_co_u32 v10, vcc_lo, v4, v6
	v_add_co_ci_u32_e64 v11, null, v5, v7, vcc_lo
	v_ashrrev_i64 v[10:11], 1, v[10:11]
	v_sub_co_u32 v12, vcc_lo, s17, v10
	v_sub_co_ci_u32_e64 v13, null, s1, v11, vcc_lo
	v_mul_lo_u32 v15, v12, v11
	v_mul_lo_u32 v14, v13, v10
	v_mad_u64_u32 v[12:13], null, v12, v10, 0
	v_add3_u32 v13, v13, v15, v14
	v_cmp_gt_i64_e32 vcc_lo, v[12:13], v[8:9]
	v_cndmask_b32_e32 v4, v10, v4, vcc_lo
	v_cndmask_b32_e32 v5, v11, v5, vcc_lo
	;; [unrolled: 1-line block ×4, first 2 shown]
	v_add_co_u32 v10, vcc_lo, v4, 1
	v_add_co_ci_u32_e64 v11, null, 0, v5, vcc_lo
	v_cmp_ge_i64_e32 vcc_lo, v[10:11], v[6:7]
	s_or_b32 s8, vcc_lo, s8
	s_andn2_b32 exec_lo, exec_lo, s8
	s_cbranch_execnz .LBB3_5
; %bb.6:
	s_or_b32 exec_lo, exec_lo, s8
.LBB3_7:
	s_or_b32 exec_lo, exec_lo, s0
.LBB3_8:
	s_or_b32 exec_lo, exec_lo, s3
	s_or_b64 s[8:9], s[12:13], s[10:11]
	s_mov_b32 s3, s9
	s_cmp_lg_u64 s[2:3], 0
	s_cbranch_scc0 .LBB3_20
; %bb.9:
	s_ashr_i32 s2, s11, 31
	s_add_u32 s8, s10, s2
	s_mov_b32 s3, s2
	s_addc_u32 s9, s11, s2
	s_xor_b64 s[8:9], s[8:9], s[2:3]
	v_cvt_f32_u32_e32 v6, s8
	v_cvt_f32_u32_e32 v7, s9
	s_sub_u32 s19, 0, s8
	s_subb_u32 s20, 0, s9
	v_fmamk_f32 v6, v7, 0x4f800000, v6
	v_rcp_f32_e32 v6, v6
	v_mul_f32_e32 v6, 0x5f7ffffc, v6
	v_mul_f32_e32 v7, 0x2f800000, v6
	v_trunc_f32_e32 v7, v7
	v_fmamk_f32 v6, v7, 0xcf800000, v6
	v_cvt_u32_f32_e32 v7, v7
	v_cvt_u32_f32_e32 v6, v6
	v_readfirstlane_b32 s0, v7
	v_readfirstlane_b32 s18, v6
	s_mul_i32 s21, s19, s0
	s_mul_hi_u32 s23, s19, s18
	s_mul_i32 s22, s20, s18
	s_add_i32 s21, s23, s21
	s_mul_i32 s24, s19, s18
	s_add_i32 s21, s21, s22
	s_mul_hi_u32 s23, s18, s24
	s_mul_i32 s26, s18, s21
	s_mul_hi_u32 s25, s0, s24
	s_mul_i32 s22, s0, s24
	s_mul_hi_u32 s24, s18, s21
	s_add_u32 s23, s23, s26
	s_addc_u32 s24, 0, s24
	s_mul_hi_u32 s27, s0, s21
	s_add_u32 s22, s23, s22
	s_mul_i32 s21, s0, s21
	s_addc_u32 s22, s24, s25
	s_addc_u32 s23, s27, 0
	s_add_u32 s21, s22, s21
	s_addc_u32 s22, 0, s23
	s_add_u32 s18, s18, s21
	s_cselect_b32 s21, -1, 0
	s_mul_hi_u32 s23, s19, s18
	s_cmp_lg_u32 s21, 0
	s_mul_i32 s21, s19, s18
	s_addc_u32 s0, s0, s22
	s_mul_i32 s20, s20, s18
	s_mul_i32 s19, s19, s0
	s_mul_hi_u32 s22, s18, s21
	s_add_i32 s19, s23, s19
	s_mul_hi_u32 s23, s0, s21
	s_add_i32 s19, s19, s20
	s_mul_i32 s20, s0, s21
	s_mul_i32 s25, s18, s19
	s_mul_hi_u32 s24, s18, s19
	s_add_u32 s22, s22, s25
	s_addc_u32 s24, 0, s24
	s_mul_hi_u32 s21, s0, s19
	s_add_u32 s20, s22, s20
	s_mul_i32 s19, s0, s19
	s_addc_u32 s20, s24, s23
	s_addc_u32 s21, s21, 0
	s_add_u32 s19, s20, s19
	s_addc_u32 s20, 0, s21
	s_add_u32 s22, s18, s19
	s_cselect_b32 s18, -1, 0
	s_cmp_lg_u32 s18, 0
	s_addc_u32 s0, s0, s20
	s_ashr_i32 s18, s13, 31
	s_add_u32 s20, s12, s18
	s_mov_b32 s19, s18
	s_addc_u32 s21, s13, s18
	s_xor_b64 s[20:21], s[20:21], s[18:19]
	s_mul_i32 s23, s20, s0
	s_mul_hi_u32 s24, s20, s22
	s_mul_hi_u32 s13, s20, s0
	;; [unrolled: 1-line block ×3, first 2 shown]
	s_mul_i32 s22, s21, s22
	s_add_u32 s23, s24, s23
	s_addc_u32 s13, 0, s13
	s_mul_hi_u32 s25, s21, s0
	s_add_u32 s22, s23, s22
	s_mul_i32 s0, s21, s0
	s_addc_u32 s13, s13, s26
	s_addc_u32 s22, s25, 0
	s_add_u32 s0, s13, s0
	s_addc_u32 s13, 0, s22
	s_mul_hi_u32 s22, s8, s0
	s_mul_i32 s23, s8, s13
	s_mul_i32 s24, s9, s0
	s_add_i32 s22, s22, s23
	s_mul_i32 s23, s8, s0
	s_add_i32 s22, s22, s24
	s_sub_i32 s24, s21, s22
	s_sub_u32 s20, s20, s23
	s_cselect_b32 s23, -1, 0
	s_cmp_lg_u32 s23, 0
	s_subb_u32 s24, s24, s9
	s_sub_u32 s25, s20, s8
	s_cselect_b32 s26, -1, 0
	s_cmp_lg_u32 s26, 0
	s_subb_u32 s24, s24, 0
	s_cmp_ge_u32 s24, s9
	s_cselect_b32 s26, -1, 0
	s_cmp_ge_u32 s25, s8
	s_cselect_b32 s25, -1, 0
	s_cmp_eq_u32 s24, s9
	s_cselect_b32 s24, s25, s26
	s_add_u32 s25, s0, 1
	s_addc_u32 s26, s13, 0
	s_add_u32 s27, s0, 2
	s_addc_u32 s28, s13, 0
	s_cmp_lg_u32 s24, 0
	s_cselect_b32 s24, s27, s25
	s_cselect_b32 s25, s28, s26
	s_cmp_lg_u32 s23, 0
	s_subb_u32 s21, s21, s22
	s_cmp_ge_u32 s21, s9
	s_cselect_b32 s22, -1, 0
	s_cmp_ge_u32 s20, s8
	s_cselect_b32 s8, -1, 0
	s_cmp_eq_u32 s21, s9
	s_cselect_b32 s8, s8, s22
	s_cmp_lg_u32 s8, 0
	s_cselect_b32 s9, s25, s13
	s_cselect_b32 s8, s24, s0
	s_xor_b64 s[2:3], s[18:19], s[2:3]
	s_xor_b64 s[8:9], s[8:9], s[2:3]
	s_sub_u32 s2, s8, s2
	s_subb_u32 s3, s9, s3
	s_cbranch_execnz .LBB3_11
.LBB3_10:
	v_cvt_f32_u32_e32 v6, s10
	s_sub_i32 s2, 0, s10
	v_rcp_iflag_f32_e32 v6, v6
	v_mul_f32_e32 v6, 0x4f7ffffe, v6
	v_cvt_u32_f32_e32 v6, v6
	v_readfirstlane_b32 s0, v6
	s_mul_i32 s2, s2, s0
	s_mul_hi_u32 s2, s0, s2
	s_add_i32 s0, s0, s2
	s_mul_hi_u32 s0, s12, s0
	s_mul_i32 s2, s0, s10
	s_add_i32 s3, s0, 1
	s_sub_i32 s2, s12, s2
	s_sub_i32 s8, s2, s10
	s_cmp_ge_u32 s2, s10
	s_cselect_b32 s0, s3, s0
	s_cselect_b32 s2, s8, s2
	s_add_i32 s8, s0, 1
	s_cmp_ge_u32 s2, s10
	s_mov_b32 s3, 0
	s_cselect_b32 s2, s8, s0
.LBB3_11:
	v_sub_co_u32 v6, vcc_lo, s17, v4
	v_sub_co_ci_u32_e64 v7, null, s1, v5, vcc_lo
	v_add_co_u32 v2, vcc_lo, v4, v2
	v_mul_lo_u32 v9, v6, v5
	v_mul_lo_u32 v8, v7, v4
	v_mad_u64_u32 v[6:7], null, v6, v4, 0
	v_add_co_ci_u32_e64 v3, null, v5, v3, vcc_lo
	v_add3_u32 v7, v7, v9, v8
	v_ashrrev_i64 v[6:7], 1, v[6:7]
	v_sub_co_u32 v6, vcc_lo, v2, v6
	v_sub_co_ci_u32_e64 v7, null, v3, v7, vcc_lo
	v_add_co_u32 v2, vcc_lo, s2, v4
	v_add_co_ci_u32_e64 v3, null, s3, v5, vcc_lo
.LBB3_12:
	s_andn2_saveexec_b32 s1, s16
	s_cbranch_execz .LBB3_18
; %bb.13:
	s_waitcnt lgkmcnt(0)
	v_or_b32_e32 v3, s11, v1
	v_mov_b32_e32 v2, 0
	v_cmp_ne_u64_e32 vcc_lo, 0, v[2:3]
                                        ; implicit-def: $vgpr2_vgpr3
	s_and_saveexec_b32 s0, vcc_lo
	s_xor_b32 s12, exec_lo, s0
	s_cbranch_execz .LBB3_15
; %bb.14:
	s_ashr_i32 s2, s11, 31
	v_ashrrev_i32_e32 v8, 31, v1
	s_add_u32 s8, s10, s2
	s_mov_b32 s3, s2
	s_addc_u32 s9, s11, s2
	s_xor_b64 s[8:9], s[8:9], s[2:3]
	v_add_co_u32 v4, vcc_lo, v0, v8
	v_cvt_f32_u32_e32 v2, s8
	v_cvt_f32_u32_e32 v3, s9
	s_sub_u32 s13, 0, s8
	s_subb_u32 s16, 0, s9
	v_add_co_ci_u32_e64 v5, null, v1, v8, vcc_lo
	v_fmamk_f32 v2, v3, 0x4f800000, v2
	v_xor_b32_e32 v9, v4, v8
	v_xor_b32_e32 v10, v5, v8
	v_rcp_f32_e32 v2, v2
	v_mul_f32_e32 v2, 0x5f7ffffc, v2
	v_mul_f32_e32 v3, 0x2f800000, v2
	v_trunc_f32_e32 v3, v3
	v_fmamk_f32 v2, v3, 0xcf800000, v2
	v_cvt_u32_f32_e32 v3, v3
	v_cvt_u32_f32_e32 v2, v2
	v_readfirstlane_b32 s0, v3
	v_readfirstlane_b32 s3, v2
	s_mul_i32 s17, s13, s0
	s_mul_hi_u32 s19, s13, s3
	s_mul_i32 s18, s16, s3
	s_add_i32 s17, s19, s17
	s_mul_i32 s20, s13, s3
	s_add_i32 s17, s17, s18
	s_mul_hi_u32 s19, s3, s20
	s_mul_i32 s22, s3, s17
	s_mul_hi_u32 s21, s0, s20
	s_mul_i32 s18, s0, s20
	s_mul_hi_u32 s20, s3, s17
	s_add_u32 s19, s19, s22
	s_addc_u32 s20, 0, s20
	s_mul_hi_u32 s23, s0, s17
	s_add_u32 s18, s19, s18
	s_mul_i32 s17, s0, s17
	s_addc_u32 s18, s20, s21
	s_addc_u32 s19, s23, 0
	s_add_u32 s17, s18, s17
	s_addc_u32 s18, 0, s19
	s_add_u32 s3, s3, s17
	s_cselect_b32 s17, -1, 0
	s_mul_hi_u32 s19, s13, s3
	s_cmp_lg_u32 s17, 0
	s_mul_i32 s17, s13, s3
	s_addc_u32 s0, s0, s18
	s_mul_i32 s16, s16, s3
	s_mul_i32 s13, s13, s0
	s_mul_hi_u32 s18, s3, s17
	s_add_i32 s13, s19, s13
	s_mul_hi_u32 s19, s0, s17
	s_add_i32 s13, s13, s16
	s_mul_i32 s16, s0, s17
	s_mul_i32 s21, s3, s13
	s_mul_hi_u32 s20, s3, s13
	s_add_u32 s18, s18, s21
	s_addc_u32 s20, 0, s20
	s_mul_hi_u32 s17, s0, s13
	s_add_u32 s16, s18, s16
	s_mul_i32 s13, s0, s13
	s_addc_u32 s16, s20, s19
	s_addc_u32 s17, s17, 0
	s_add_u32 s13, s16, s13
	s_addc_u32 s16, 0, s17
	s_add_u32 s3, s3, s13
	s_cselect_b32 s13, -1, 0
	v_mul_hi_u32 v11, v9, s3
	s_cmp_lg_u32 s13, 0
	v_mad_u64_u32 v[4:5], null, v10, s3, 0
	s_addc_u32 s0, s0, s16
	v_mad_u64_u32 v[2:3], null, v9, s0, 0
	v_mad_u64_u32 v[6:7], null, v10, s0, 0
	v_add_co_u32 v2, vcc_lo, v11, v2
	v_add_co_ci_u32_e64 v3, null, 0, v3, vcc_lo
	v_add_co_u32 v2, vcc_lo, v2, v4
	v_add_co_ci_u32_e32 v2, vcc_lo, v3, v5, vcc_lo
	v_add_co_ci_u32_e32 v3, vcc_lo, 0, v7, vcc_lo
	v_add_co_u32 v4, vcc_lo, v2, v6
	v_add_co_ci_u32_e64 v5, null, 0, v3, vcc_lo
	v_mul_lo_u32 v6, s9, v4
	v_mad_u64_u32 v[2:3], null, s8, v4, 0
	v_mul_lo_u32 v7, s8, v5
	v_sub_co_u32 v2, vcc_lo, v9, v2
	v_add3_u32 v3, v3, v7, v6
	v_add_co_u32 v7, s0, v4, 2
	v_add_co_ci_u32_e64 v9, null, 0, v5, s0
	v_sub_nc_u32_e32 v6, v10, v3
	v_sub_co_u32 v11, s0, v2, s8
	v_sub_co_ci_u32_e64 v3, null, v10, v3, vcc_lo
	v_subrev_co_ci_u32_e64 v6, null, s9, v6, vcc_lo
	v_cmp_le_u32_e32 vcc_lo, s8, v11
	v_subrev_co_ci_u32_e64 v6, null, 0, v6, s0
	v_cndmask_b32_e64 v10, 0, -1, vcc_lo
	v_cmp_le_u32_e32 vcc_lo, s9, v6
	v_cndmask_b32_e64 v11, 0, -1, vcc_lo
	v_cmp_le_u32_e32 vcc_lo, s8, v2
	;; [unrolled: 2-line block ×3, first 2 shown]
	v_cndmask_b32_e64 v12, 0, -1, vcc_lo
	v_cmp_eq_u32_e32 vcc_lo, s9, v6
	v_cndmask_b32_e32 v6, v11, v10, vcc_lo
	v_add_co_u32 v10, vcc_lo, v4, 1
	v_add_co_ci_u32_e64 v11, null, 0, v5, vcc_lo
	v_cmp_eq_u32_e32 vcc_lo, s9, v3
	v_cndmask_b32_e32 v2, v12, v2, vcc_lo
	v_cmp_ne_u32_e32 vcc_lo, 0, v6
	v_xor_b32_e32 v6, s2, v8
	v_cmp_ne_u32_e64 s0, 0, v2
	v_cndmask_b32_e32 v2, v10, v7, vcc_lo
	v_cndmask_b32_e32 v3, v11, v9, vcc_lo
	v_cndmask_b32_e64 v2, v4, v2, s0
	v_cndmask_b32_e64 v3, v5, v3, s0
	v_xor_b32_e32 v2, v2, v6
	v_xor_b32_e32 v3, v3, v6
	v_sub_co_u32 v2, vcc_lo, v2, v6
	v_sub_co_ci_u32_e64 v3, null, v3, v6, vcc_lo
.LBB3_15:
	s_andn2_saveexec_b32 s0, s12
	s_cbranch_execz .LBB3_17
; %bb.16:
	v_cvt_f32_u32_e32 v2, s10
	s_sub_i32 s2, 0, s10
	v_rcp_iflag_f32_e32 v2, v2
	v_mul_f32_e32 v2, 0x4f7ffffe, v2
	v_cvt_u32_f32_e32 v2, v2
	v_mul_lo_u32 v3, s2, v2
	v_mul_hi_u32 v3, v2, v3
	v_add_nc_u32_e32 v2, v2, v3
	v_mul_hi_u32 v2, v0, v2
	v_mul_lo_u32 v3, v2, s10
	v_add_nc_u32_e32 v4, 1, v2
	v_sub_nc_u32_e32 v3, v0, v3
	v_subrev_nc_u32_e32 v5, s10, v3
	v_cmp_le_u32_e32 vcc_lo, s10, v3
	v_cndmask_b32_e32 v3, v3, v5, vcc_lo
	v_cndmask_b32_e32 v2, v2, v4, vcc_lo
	v_cmp_le_u32_e32 vcc_lo, s10, v3
	v_add_nc_u32_e32 v4, 1, v2
	v_mov_b32_e32 v3, 0
	v_cndmask_b32_e32 v2, v2, v4, vcc_lo
.LBB3_17:
	s_or_b32 exec_lo, exec_lo, s0
	v_mul_lo_u32 v6, v3, s10
	v_mul_lo_u32 v7, v2, s11
	v_mad_u64_u32 v[4:5], null, v2, s10, 0
	v_add3_u32 v5, v5, v7, v6
	v_sub_co_u32 v6, vcc_lo, v0, v4
	v_sub_co_ci_u32_e64 v7, null, v1, v5, vcc_lo
.LBB3_18:
	s_or_b32 exec_lo, exec_lo, s1
	v_lshlrev_b64 v[0:1], 3, v[0:1]
	s_waitcnt lgkmcnt(0)
	v_add_co_u32 v4, vcc_lo, v6, s6
	v_add_co_ci_u32_e64 v5, null, s7, v7, vcc_lo
	s_lshl_b64 s[0:1], s[14:15], 3
	v_add_co_u32 v0, vcc_lo, s4, v0
	v_add_co_ci_u32_e64 v1, null, s5, v1, vcc_lo
	v_add_co_u32 v6, vcc_lo, v0, s0
	v_add_co_ci_u32_e64 v7, null, s1, v1, vcc_lo
	global_store_dwordx2 v[0:1], v[2:3], off
	global_store_dwordx2 v[6:7], v[4:5], off
.LBB3_19:
	s_endpgm
.LBB3_20:
                                        ; implicit-def: $sgpr2_sgpr3
	s_branch .LBB3_10
	.section	.rodata,"a",@progbits
	.p2align	6, 0x0
	.amdhsa_kernel _ZN2at6native19triu_indices_kernelIlEEvPT_lllll
		.amdhsa_group_segment_fixed_size 0
		.amdhsa_private_segment_fixed_size 0
		.amdhsa_kernarg_size 304
		.amdhsa_user_sgpr_count 6
		.amdhsa_user_sgpr_private_segment_buffer 1
		.amdhsa_user_sgpr_dispatch_ptr 0
		.amdhsa_user_sgpr_queue_ptr 0
		.amdhsa_user_sgpr_kernarg_segment_ptr 1
		.amdhsa_user_sgpr_dispatch_id 0
		.amdhsa_user_sgpr_flat_scratch_init 0
		.amdhsa_user_sgpr_private_segment_size 0
		.amdhsa_wavefront_size32 1
		.amdhsa_uses_dynamic_stack 0
		.amdhsa_system_sgpr_private_segment_wavefront_offset 0
		.amdhsa_system_sgpr_workgroup_id_x 1
		.amdhsa_system_sgpr_workgroup_id_y 0
		.amdhsa_system_sgpr_workgroup_id_z 0
		.amdhsa_system_sgpr_workgroup_info 0
		.amdhsa_system_vgpr_workitem_id 0
		.amdhsa_next_free_vgpr 16
		.amdhsa_next_free_sgpr 29
		.amdhsa_reserve_vcc 1
		.amdhsa_reserve_flat_scratch 0
		.amdhsa_float_round_mode_32 0
		.amdhsa_float_round_mode_16_64 0
		.amdhsa_float_denorm_mode_32 3
		.amdhsa_float_denorm_mode_16_64 3
		.amdhsa_dx10_clamp 1
		.amdhsa_ieee_mode 1
		.amdhsa_fp16_overflow 0
		.amdhsa_workgroup_processor_mode 1
		.amdhsa_memory_ordered 1
		.amdhsa_forward_progress 1
		.amdhsa_shared_vgpr_count 0
		.amdhsa_exception_fp_ieee_invalid_op 0
		.amdhsa_exception_fp_denorm_src 0
		.amdhsa_exception_fp_ieee_div_zero 0
		.amdhsa_exception_fp_ieee_overflow 0
		.amdhsa_exception_fp_ieee_underflow 0
		.amdhsa_exception_fp_ieee_inexact 0
		.amdhsa_exception_int_div_zero 0
	.end_amdhsa_kernel
	.section	.text._ZN2at6native19triu_indices_kernelIlEEvPT_lllll,"axG",@progbits,_ZN2at6native19triu_indices_kernelIlEEvPT_lllll,comdat
.Lfunc_end3:
	.size	_ZN2at6native19triu_indices_kernelIlEEvPT_lllll, .Lfunc_end3-_ZN2at6native19triu_indices_kernelIlEEvPT_lllll
                                        ; -- End function
	.set _ZN2at6native19triu_indices_kernelIlEEvPT_lllll.num_vgpr, 16
	.set _ZN2at6native19triu_indices_kernelIlEEvPT_lllll.num_agpr, 0
	.set _ZN2at6native19triu_indices_kernelIlEEvPT_lllll.numbered_sgpr, 29
	.set _ZN2at6native19triu_indices_kernelIlEEvPT_lllll.num_named_barrier, 0
	.set _ZN2at6native19triu_indices_kernelIlEEvPT_lllll.private_seg_size, 0
	.set _ZN2at6native19triu_indices_kernelIlEEvPT_lllll.uses_vcc, 1
	.set _ZN2at6native19triu_indices_kernelIlEEvPT_lllll.uses_flat_scratch, 0
	.set _ZN2at6native19triu_indices_kernelIlEEvPT_lllll.has_dyn_sized_stack, 0
	.set _ZN2at6native19triu_indices_kernelIlEEvPT_lllll.has_recursion, 0
	.set _ZN2at6native19triu_indices_kernelIlEEvPT_lllll.has_indirect_call, 0
	.section	.AMDGPU.csdata,"",@progbits
; Kernel info:
; codeLenInByte = 2692
; TotalNumSgprs: 31
; NumVgprs: 16
; ScratchSize: 0
; MemoryBound: 0
; FloatMode: 240
; IeeeMode: 1
; LDSByteSize: 0 bytes/workgroup (compile time only)
; SGPRBlocks: 0
; VGPRBlocks: 1
; NumSGPRsForWavesPerEU: 31
; NumVGPRsForWavesPerEU: 16
; Occupancy: 16
; WaveLimiterHint : 0
; COMPUTE_PGM_RSRC2:SCRATCH_EN: 0
; COMPUTE_PGM_RSRC2:USER_SGPR: 6
; COMPUTE_PGM_RSRC2:TRAP_HANDLER: 0
; COMPUTE_PGM_RSRC2:TGID_X_EN: 1
; COMPUTE_PGM_RSRC2:TGID_Y_EN: 0
; COMPUTE_PGM_RSRC2:TGID_Z_EN: 0
; COMPUTE_PGM_RSRC2:TIDIG_COMP_CNT: 0
	.section	.AMDGPU.gpr_maximums,"",@progbits
	.set amdgpu.max_num_vgpr, 0
	.set amdgpu.max_num_agpr, 0
	.set amdgpu.max_num_sgpr, 0
	.section	.AMDGPU.csdata,"",@progbits
	.type	__hip_cuid_5f1334b5684b00a7,@object ; @__hip_cuid_5f1334b5684b00a7
	.section	.bss,"aw",@nobits
	.globl	__hip_cuid_5f1334b5684b00a7
__hip_cuid_5f1334b5684b00a7:
	.byte	0                               ; 0x0
	.size	__hip_cuid_5f1334b5684b00a7, 1

	.ident	"AMD clang version 22.0.0git (https://github.com/RadeonOpenCompute/llvm-project roc-7.2.4 26084 f58b06dce1f9c15707c5f808fd002e18c2accf7e)"
	.section	".note.GNU-stack","",@progbits
	.addrsig
	.addrsig_sym __hip_cuid_5f1334b5684b00a7
	.amdgpu_metadata
---
amdhsa.kernels:
  - .args:
      - .address_space:  global
        .offset:         0
        .size:           8
        .value_kind:     global_buffer
      - .offset:         8
        .size:           8
        .value_kind:     by_value
      - .offset:         16
        .size:           8
        .value_kind:     by_value
      - .offset:         24
        .size:           8
        .value_kind:     by_value
      - .offset:         32
        .size:           8
        .value_kind:     by_value
      - .offset:         40
        .size:           8
        .value_kind:     by_value
      - .offset:         48
        .size:           4
        .value_kind:     hidden_block_count_x
      - .offset:         52
        .size:           4
        .value_kind:     hidden_block_count_y
      - .offset:         56
        .size:           4
        .value_kind:     hidden_block_count_z
      - .offset:         60
        .size:           2
        .value_kind:     hidden_group_size_x
      - .offset:         62
        .size:           2
        .value_kind:     hidden_group_size_y
      - .offset:         64
        .size:           2
        .value_kind:     hidden_group_size_z
      - .offset:         66
        .size:           2
        .value_kind:     hidden_remainder_x
      - .offset:         68
        .size:           2
        .value_kind:     hidden_remainder_y
      - .offset:         70
        .size:           2
        .value_kind:     hidden_remainder_z
      - .offset:         88
        .size:           8
        .value_kind:     hidden_global_offset_x
      - .offset:         96
        .size:           8
        .value_kind:     hidden_global_offset_y
      - .offset:         104
        .size:           8
        .value_kind:     hidden_global_offset_z
      - .offset:         112
        .size:           2
        .value_kind:     hidden_grid_dims
    .group_segment_fixed_size: 0
    .kernarg_segment_align: 8
    .kernarg_segment_size: 304
    .language:       OpenCL C
    .language_version:
      - 2
      - 0
    .max_flat_workgroup_size: 512
    .name:           _ZN2at6native19tril_indices_kernelIiEEvPT_lllll
    .private_segment_fixed_size: 0
    .sgpr_count:     27
    .sgpr_spill_count: 0
    .symbol:         _ZN2at6native19tril_indices_kernelIiEEvPT_lllll.kd
    .uniform_work_group_size: 1
    .uses_dynamic_stack: false
    .vgpr_count:     15
    .vgpr_spill_count: 0
    .wavefront_size: 32
    .workgroup_processor_mode: 1
  - .args:
      - .address_space:  global
        .offset:         0
        .size:           8
        .value_kind:     global_buffer
      - .offset:         8
        .size:           8
        .value_kind:     by_value
      - .offset:         16
        .size:           8
        .value_kind:     by_value
      - .offset:         24
        .size:           8
        .value_kind:     by_value
      - .offset:         32
        .size:           8
        .value_kind:     by_value
      - .offset:         40
        .size:           8
        .value_kind:     by_value
      - .offset:         48
        .size:           4
        .value_kind:     hidden_block_count_x
      - .offset:         52
        .size:           4
        .value_kind:     hidden_block_count_y
      - .offset:         56
        .size:           4
        .value_kind:     hidden_block_count_z
      - .offset:         60
        .size:           2
        .value_kind:     hidden_group_size_x
      - .offset:         62
        .size:           2
        .value_kind:     hidden_group_size_y
      - .offset:         64
        .size:           2
        .value_kind:     hidden_group_size_z
      - .offset:         66
        .size:           2
        .value_kind:     hidden_remainder_x
      - .offset:         68
        .size:           2
        .value_kind:     hidden_remainder_y
      - .offset:         70
        .size:           2
        .value_kind:     hidden_remainder_z
      - .offset:         88
        .size:           8
        .value_kind:     hidden_global_offset_x
      - .offset:         96
        .size:           8
        .value_kind:     hidden_global_offset_y
      - .offset:         104
        .size:           8
        .value_kind:     hidden_global_offset_z
      - .offset:         112
        .size:           2
        .value_kind:     hidden_grid_dims
    .group_segment_fixed_size: 0
    .kernarg_segment_align: 8
    .kernarg_segment_size: 304
    .language:       OpenCL C
    .language_version:
      - 2
      - 0
    .max_flat_workgroup_size: 512
    .name:           _ZN2at6native19tril_indices_kernelIlEEvPT_lllll
    .private_segment_fixed_size: 0
    .sgpr_count:     28
    .sgpr_spill_count: 0
    .symbol:         _ZN2at6native19tril_indices_kernelIlEEvPT_lllll.kd
    .uniform_work_group_size: 1
    .uses_dynamic_stack: false
    .vgpr_count:     16
    .vgpr_spill_count: 0
    .wavefront_size: 32
    .workgroup_processor_mode: 1
  - .args:
      - .address_space:  global
        .offset:         0
        .size:           8
        .value_kind:     global_buffer
      - .offset:         8
        .size:           8
        .value_kind:     by_value
      - .offset:         16
        .size:           8
        .value_kind:     by_value
      - .offset:         24
        .size:           8
        .value_kind:     by_value
      - .offset:         32
        .size:           8
        .value_kind:     by_value
      - .offset:         40
        .size:           8
        .value_kind:     by_value
      - .offset:         48
        .size:           4
        .value_kind:     hidden_block_count_x
      - .offset:         52
        .size:           4
        .value_kind:     hidden_block_count_y
      - .offset:         56
        .size:           4
        .value_kind:     hidden_block_count_z
      - .offset:         60
        .size:           2
        .value_kind:     hidden_group_size_x
      - .offset:         62
        .size:           2
        .value_kind:     hidden_group_size_y
      - .offset:         64
        .size:           2
        .value_kind:     hidden_group_size_z
      - .offset:         66
        .size:           2
        .value_kind:     hidden_remainder_x
      - .offset:         68
        .size:           2
        .value_kind:     hidden_remainder_y
      - .offset:         70
        .size:           2
        .value_kind:     hidden_remainder_z
      - .offset:         88
        .size:           8
        .value_kind:     hidden_global_offset_x
      - .offset:         96
        .size:           8
        .value_kind:     hidden_global_offset_y
      - .offset:         104
        .size:           8
        .value_kind:     hidden_global_offset_z
      - .offset:         112
        .size:           2
        .value_kind:     hidden_grid_dims
    .group_segment_fixed_size: 0
    .kernarg_segment_align: 8
    .kernarg_segment_size: 304
    .language:       OpenCL C
    .language_version:
      - 2
      - 0
    .max_flat_workgroup_size: 1024
    .name:           _ZN2at6native19triu_indices_kernelIiEEvPT_lllll
    .private_segment_fixed_size: 0
    .sgpr_count:     30
    .sgpr_spill_count: 0
    .symbol:         _ZN2at6native19triu_indices_kernelIiEEvPT_lllll.kd
    .uniform_work_group_size: 1
    .uses_dynamic_stack: false
    .vgpr_count:     16
    .vgpr_spill_count: 0
    .wavefront_size: 32
    .workgroup_processor_mode: 1
  - .args:
      - .address_space:  global
        .offset:         0
        .size:           8
        .value_kind:     global_buffer
      - .offset:         8
        .size:           8
        .value_kind:     by_value
      - .offset:         16
        .size:           8
        .value_kind:     by_value
      - .offset:         24
        .size:           8
        .value_kind:     by_value
      - .offset:         32
        .size:           8
        .value_kind:     by_value
      - .offset:         40
        .size:           8
        .value_kind:     by_value
      - .offset:         48
        .size:           4
        .value_kind:     hidden_block_count_x
      - .offset:         52
        .size:           4
        .value_kind:     hidden_block_count_y
      - .offset:         56
        .size:           4
        .value_kind:     hidden_block_count_z
      - .offset:         60
        .size:           2
        .value_kind:     hidden_group_size_x
      - .offset:         62
        .size:           2
        .value_kind:     hidden_group_size_y
      - .offset:         64
        .size:           2
        .value_kind:     hidden_group_size_z
      - .offset:         66
        .size:           2
        .value_kind:     hidden_remainder_x
      - .offset:         68
        .size:           2
        .value_kind:     hidden_remainder_y
      - .offset:         70
        .size:           2
        .value_kind:     hidden_remainder_z
      - .offset:         88
        .size:           8
        .value_kind:     hidden_global_offset_x
      - .offset:         96
        .size:           8
        .value_kind:     hidden_global_offset_y
      - .offset:         104
        .size:           8
        .value_kind:     hidden_global_offset_z
      - .offset:         112
        .size:           2
        .value_kind:     hidden_grid_dims
    .group_segment_fixed_size: 0
    .kernarg_segment_align: 8
    .kernarg_segment_size: 304
    .language:       OpenCL C
    .language_version:
      - 2
      - 0
    .max_flat_workgroup_size: 1024
    .name:           _ZN2at6native19triu_indices_kernelIlEEvPT_lllll
    .private_segment_fixed_size: 0
    .sgpr_count:     31
    .sgpr_spill_count: 0
    .symbol:         _ZN2at6native19triu_indices_kernelIlEEvPT_lllll.kd
    .uniform_work_group_size: 1
    .uses_dynamic_stack: false
    .vgpr_count:     16
    .vgpr_spill_count: 0
    .wavefront_size: 32
    .workgroup_processor_mode: 1
amdhsa.target:   amdgcn-amd-amdhsa--gfx1030
amdhsa.version:
  - 1
  - 2
...

	.end_amdgpu_metadata
